;; amdgpu-corpus repo=ROCm/rocFFT kind=compiled arch=gfx1201 opt=O3
	.text
	.amdgcn_target "amdgcn-amd-amdhsa--gfx1201"
	.amdhsa_code_object_version 6
	.protected	fft_rtc_back_len1188_factors_6_11_2_3_3_wgs_198_tpt_66_halfLds_half_ip_CI_sbrr_dirReg ; -- Begin function fft_rtc_back_len1188_factors_6_11_2_3_3_wgs_198_tpt_66_halfLds_half_ip_CI_sbrr_dirReg
	.globl	fft_rtc_back_len1188_factors_6_11_2_3_3_wgs_198_tpt_66_halfLds_half_ip_CI_sbrr_dirReg
	.p2align	8
	.type	fft_rtc_back_len1188_factors_6_11_2_3_3_wgs_198_tpt_66_halfLds_half_ip_CI_sbrr_dirReg,@function
fft_rtc_back_len1188_factors_6_11_2_3_3_wgs_198_tpt_66_halfLds_half_ip_CI_sbrr_dirReg: ; @fft_rtc_back_len1188_factors_6_11_2_3_3_wgs_198_tpt_66_halfLds_half_ip_CI_sbrr_dirReg
; %bb.0:
	s_clause 0x1
	s_load_b64 s[12:13], s[0:1], 0x18
	s_load_b128 s[4:7], s[0:1], 0x0
	v_mul_u32_u24_e32 v1, 0x3e1, v0
	v_mov_b32_e32 v5, 0
	s_load_b64 s[10:11], s[0:1], 0x50
	s_wait_kmcnt 0x0
	s_load_b64 s[8:9], s[12:13], 0x0
	v_lshrrev_b32_e32 v1, 16, v1
	v_cmp_lt_u64_e64 s2, s[6:7], 2
	s_delay_alu instid0(VALU_DEP_2) | instskip(SKIP_4) | instid1(VALU_DEP_1)
	v_mad_co_u64_u32 v[1:2], null, ttmp9, 3, v[1:2]
	v_mov_b32_e32 v3, 0
	v_mov_b32_e32 v4, 0
	;; [unrolled: 1-line block ×3, first 2 shown]
	s_and_b32 vcc_lo, exec_lo, s2
	v_dual_mov_b32 v10, v2 :: v_dual_mov_b32 v9, v1
	s_cbranch_vccnz .LBB0_8
; %bb.1:
	s_load_b64 s[2:3], s[0:1], 0x10
	v_dual_mov_b32 v3, 0 :: v_dual_mov_b32 v8, v2
	v_dual_mov_b32 v4, 0 :: v_dual_mov_b32 v7, v1
	s_add_nc_u64 s[14:15], s[12:13], 8
	s_mov_b64 s[16:17], 1
	s_wait_kmcnt 0x0
	s_add_nc_u64 s[18:19], s[2:3], 8
	s_mov_b32 s3, 0
.LBB0_2:                                ; =>This Inner Loop Header: Depth=1
	s_load_b64 s[20:21], s[18:19], 0x0
                                        ; implicit-def: $vgpr9_vgpr10
	s_mov_b32 s2, exec_lo
	s_wait_kmcnt 0x0
	v_or_b32_e32 v6, s21, v8
	s_delay_alu instid0(VALU_DEP_1)
	v_cmpx_ne_u64_e32 0, v[5:6]
	s_wait_alu 0xfffe
	s_xor_b32 s22, exec_lo, s2
	s_cbranch_execz .LBB0_4
; %bb.3:                                ;   in Loop: Header=BB0_2 Depth=1
	s_cvt_f32_u32 s2, s20
	s_cvt_f32_u32 s23, s21
	s_sub_nc_u64 s[26:27], 0, s[20:21]
	s_wait_alu 0xfffe
	s_delay_alu instid0(SALU_CYCLE_1) | instskip(SKIP_1) | instid1(SALU_CYCLE_2)
	s_fmamk_f32 s2, s23, 0x4f800000, s2
	s_wait_alu 0xfffe
	v_s_rcp_f32 s2, s2
	s_delay_alu instid0(TRANS32_DEP_1) | instskip(SKIP_1) | instid1(SALU_CYCLE_2)
	s_mul_f32 s2, s2, 0x5f7ffffc
	s_wait_alu 0xfffe
	s_mul_f32 s23, s2, 0x2f800000
	s_wait_alu 0xfffe
	s_delay_alu instid0(SALU_CYCLE_2) | instskip(SKIP_1) | instid1(SALU_CYCLE_2)
	s_trunc_f32 s23, s23
	s_wait_alu 0xfffe
	s_fmamk_f32 s2, s23, 0xcf800000, s2
	s_cvt_u32_f32 s25, s23
	s_wait_alu 0xfffe
	s_delay_alu instid0(SALU_CYCLE_1) | instskip(SKIP_1) | instid1(SALU_CYCLE_2)
	s_cvt_u32_f32 s24, s2
	s_wait_alu 0xfffe
	s_mul_u64 s[28:29], s[26:27], s[24:25]
	s_wait_alu 0xfffe
	s_mul_hi_u32 s31, s24, s29
	s_mul_i32 s30, s24, s29
	s_mul_hi_u32 s2, s24, s28
	s_mul_i32 s33, s25, s28
	s_wait_alu 0xfffe
	s_add_nc_u64 s[30:31], s[2:3], s[30:31]
	s_mul_hi_u32 s23, s25, s28
	s_mul_hi_u32 s34, s25, s29
	s_add_co_u32 s2, s30, s33
	s_wait_alu 0xfffe
	s_add_co_ci_u32 s2, s31, s23
	s_mul_i32 s28, s25, s29
	s_add_co_ci_u32 s29, s34, 0
	s_wait_alu 0xfffe
	s_add_nc_u64 s[28:29], s[2:3], s[28:29]
	s_wait_alu 0xfffe
	v_add_co_u32 v2, s2, s24, s28
	s_delay_alu instid0(VALU_DEP_1) | instskip(SKIP_1) | instid1(VALU_DEP_1)
	s_cmp_lg_u32 s2, 0
	s_add_co_ci_u32 s25, s25, s29
	v_readfirstlane_b32 s24, v2
	s_wait_alu 0xfffe
	s_delay_alu instid0(VALU_DEP_1)
	s_mul_u64 s[26:27], s[26:27], s[24:25]
	s_wait_alu 0xfffe
	s_mul_hi_u32 s29, s24, s27
	s_mul_i32 s28, s24, s27
	s_mul_hi_u32 s2, s24, s26
	s_mul_i32 s30, s25, s26
	s_wait_alu 0xfffe
	s_add_nc_u64 s[28:29], s[2:3], s[28:29]
	s_mul_hi_u32 s23, s25, s26
	s_mul_hi_u32 s24, s25, s27
	s_wait_alu 0xfffe
	s_add_co_u32 s2, s28, s30
	s_add_co_ci_u32 s2, s29, s23
	s_mul_i32 s26, s25, s27
	s_add_co_ci_u32 s27, s24, 0
	s_wait_alu 0xfffe
	s_add_nc_u64 s[26:27], s[2:3], s[26:27]
	s_wait_alu 0xfffe
	v_add_co_u32 v2, s2, v2, s26
	s_delay_alu instid0(VALU_DEP_1) | instskip(SKIP_1) | instid1(VALU_DEP_1)
	s_cmp_lg_u32 s2, 0
	s_add_co_ci_u32 s2, s25, s27
	v_mul_hi_u32 v6, v7, v2
	s_wait_alu 0xfffe
	v_mad_co_u64_u32 v[9:10], null, v7, s2, 0
	v_mad_co_u64_u32 v[11:12], null, v8, v2, 0
	;; [unrolled: 1-line block ×3, first 2 shown]
	s_delay_alu instid0(VALU_DEP_3) | instskip(SKIP_1) | instid1(VALU_DEP_4)
	v_add_co_u32 v2, vcc_lo, v6, v9
	s_wait_alu 0xfffd
	v_add_co_ci_u32_e32 v6, vcc_lo, 0, v10, vcc_lo
	s_delay_alu instid0(VALU_DEP_2) | instskip(SKIP_1) | instid1(VALU_DEP_2)
	v_add_co_u32 v2, vcc_lo, v2, v11
	s_wait_alu 0xfffd
	v_add_co_ci_u32_e32 v2, vcc_lo, v6, v12, vcc_lo
	s_wait_alu 0xfffd
	v_add_co_ci_u32_e32 v6, vcc_lo, 0, v14, vcc_lo
	s_delay_alu instid0(VALU_DEP_2) | instskip(SKIP_1) | instid1(VALU_DEP_2)
	v_add_co_u32 v2, vcc_lo, v2, v13
	s_wait_alu 0xfffd
	v_add_co_ci_u32_e32 v6, vcc_lo, 0, v6, vcc_lo
	s_delay_alu instid0(VALU_DEP_2) | instskip(SKIP_1) | instid1(VALU_DEP_3)
	v_mul_lo_u32 v11, s21, v2
	v_mad_co_u64_u32 v[9:10], null, s20, v2, 0
	v_mul_lo_u32 v12, s20, v6
	s_delay_alu instid0(VALU_DEP_2) | instskip(NEXT) | instid1(VALU_DEP_2)
	v_sub_co_u32 v9, vcc_lo, v7, v9
	v_add3_u32 v10, v10, v12, v11
	s_delay_alu instid0(VALU_DEP_1) | instskip(SKIP_1) | instid1(VALU_DEP_1)
	v_sub_nc_u32_e32 v11, v8, v10
	s_wait_alu 0xfffd
	v_subrev_co_ci_u32_e64 v11, s2, s21, v11, vcc_lo
	v_add_co_u32 v12, s2, v2, 2
	s_wait_alu 0xf1ff
	v_add_co_ci_u32_e64 v13, s2, 0, v6, s2
	v_sub_co_u32 v14, s2, v9, s20
	v_sub_co_ci_u32_e32 v10, vcc_lo, v8, v10, vcc_lo
	s_wait_alu 0xf1ff
	v_subrev_co_ci_u32_e64 v11, s2, 0, v11, s2
	s_delay_alu instid0(VALU_DEP_3) | instskip(NEXT) | instid1(VALU_DEP_3)
	v_cmp_le_u32_e32 vcc_lo, s20, v14
	v_cmp_eq_u32_e64 s2, s21, v10
	s_wait_alu 0xfffd
	v_cndmask_b32_e64 v14, 0, -1, vcc_lo
	v_cmp_le_u32_e32 vcc_lo, s21, v11
	s_wait_alu 0xfffd
	v_cndmask_b32_e64 v15, 0, -1, vcc_lo
	v_cmp_le_u32_e32 vcc_lo, s20, v9
	;; [unrolled: 3-line block ×3, first 2 shown]
	s_wait_alu 0xfffd
	v_cndmask_b32_e64 v16, 0, -1, vcc_lo
	v_cmp_eq_u32_e32 vcc_lo, s21, v11
	s_wait_alu 0xf1ff
	s_delay_alu instid0(VALU_DEP_2)
	v_cndmask_b32_e64 v9, v16, v9, s2
	s_wait_alu 0xfffd
	v_cndmask_b32_e32 v11, v15, v14, vcc_lo
	v_add_co_u32 v14, vcc_lo, v2, 1
	s_wait_alu 0xfffd
	v_add_co_ci_u32_e32 v15, vcc_lo, 0, v6, vcc_lo
	s_delay_alu instid0(VALU_DEP_3) | instskip(SKIP_1) | instid1(VALU_DEP_2)
	v_cmp_ne_u32_e32 vcc_lo, 0, v11
	s_wait_alu 0xfffd
	v_dual_cndmask_b32 v10, v15, v13 :: v_dual_cndmask_b32 v11, v14, v12
	v_cmp_ne_u32_e32 vcc_lo, 0, v9
	s_wait_alu 0xfffd
	s_delay_alu instid0(VALU_DEP_2) | instskip(NEXT) | instid1(VALU_DEP_3)
	v_cndmask_b32_e32 v10, v6, v10, vcc_lo
	v_cndmask_b32_e32 v9, v2, v11, vcc_lo
.LBB0_4:                                ;   in Loop: Header=BB0_2 Depth=1
	s_wait_alu 0xfffe
	s_and_not1_saveexec_b32 s2, s22
	s_cbranch_execz .LBB0_6
; %bb.5:                                ;   in Loop: Header=BB0_2 Depth=1
	v_cvt_f32_u32_e32 v2, s20
	s_sub_co_i32 s22, 0, s20
	s_delay_alu instid0(VALU_DEP_1) | instskip(NEXT) | instid1(TRANS32_DEP_1)
	v_rcp_iflag_f32_e32 v2, v2
	v_mul_f32_e32 v2, 0x4f7ffffe, v2
	s_delay_alu instid0(VALU_DEP_1) | instskip(SKIP_1) | instid1(VALU_DEP_1)
	v_cvt_u32_f32_e32 v2, v2
	s_wait_alu 0xfffe
	v_mul_lo_u32 v6, s22, v2
	s_delay_alu instid0(VALU_DEP_1) | instskip(NEXT) | instid1(VALU_DEP_1)
	v_mul_hi_u32 v6, v2, v6
	v_add_nc_u32_e32 v2, v2, v6
	s_delay_alu instid0(VALU_DEP_1) | instskip(NEXT) | instid1(VALU_DEP_1)
	v_mul_hi_u32 v2, v7, v2
	v_mul_lo_u32 v6, v2, s20
	v_add_nc_u32_e32 v9, 1, v2
	s_delay_alu instid0(VALU_DEP_2) | instskip(NEXT) | instid1(VALU_DEP_1)
	v_sub_nc_u32_e32 v6, v7, v6
	v_subrev_nc_u32_e32 v10, s20, v6
	v_cmp_le_u32_e32 vcc_lo, s20, v6
	s_wait_alu 0xfffd
	s_delay_alu instid0(VALU_DEP_2) | instskip(SKIP_2) | instid1(VALU_DEP_3)
	v_cndmask_b32_e32 v6, v6, v10, vcc_lo
	v_mov_b32_e32 v10, v5
	v_cndmask_b32_e32 v2, v2, v9, vcc_lo
	v_cmp_le_u32_e32 vcc_lo, s20, v6
	s_delay_alu instid0(VALU_DEP_2) | instskip(SKIP_1) | instid1(VALU_DEP_1)
	v_add_nc_u32_e32 v9, 1, v2
	s_wait_alu 0xfffd
	v_cndmask_b32_e32 v9, v2, v9, vcc_lo
.LBB0_6:                                ;   in Loop: Header=BB0_2 Depth=1
	s_wait_alu 0xfffe
	s_or_b32 exec_lo, exec_lo, s2
	s_load_b64 s[22:23], s[14:15], 0x0
	v_mul_lo_u32 v2, v10, s20
	v_mul_lo_u32 v6, v9, s21
	v_mad_co_u64_u32 v[11:12], null, v9, s20, 0
	s_add_nc_u64 s[16:17], s[16:17], 1
	s_add_nc_u64 s[14:15], s[14:15], 8
	s_wait_alu 0xfffe
	v_cmp_ge_u64_e64 s2, s[16:17], s[6:7]
	s_add_nc_u64 s[18:19], s[18:19], 8
	s_delay_alu instid0(VALU_DEP_2) | instskip(NEXT) | instid1(VALU_DEP_3)
	v_add3_u32 v2, v12, v6, v2
	v_sub_co_u32 v6, vcc_lo, v7, v11
	s_wait_alu 0xfffd
	s_delay_alu instid0(VALU_DEP_2) | instskip(SKIP_3) | instid1(VALU_DEP_2)
	v_sub_co_ci_u32_e32 v2, vcc_lo, v8, v2, vcc_lo
	s_and_b32 vcc_lo, exec_lo, s2
	s_wait_kmcnt 0x0
	v_mul_lo_u32 v7, s23, v6
	v_mul_lo_u32 v2, s22, v2
	v_mad_co_u64_u32 v[3:4], null, s22, v6, v[3:4]
	s_delay_alu instid0(VALU_DEP_1)
	v_add3_u32 v4, v7, v4, v2
	s_wait_alu 0xfffe
	s_cbranch_vccnz .LBB0_8
; %bb.7:                                ;   in Loop: Header=BB0_2 Depth=1
	v_dual_mov_b32 v7, v9 :: v_dual_mov_b32 v8, v10
	s_branch .LBB0_2
.LBB0_8:
	s_lshl_b64 s[2:3], s[6:7], 3
	v_mul_hi_u32 v2, 0x3e0f83f, v0
	s_wait_alu 0xfffe
	s_add_nc_u64 s[2:3], s[12:13], s[2:3]
                                        ; implicit-def: $vgpr39
	s_load_b64 s[2:3], s[2:3], 0x0
	s_load_b64 s[0:1], s[0:1], 0x20
	s_delay_alu instid0(VALU_DEP_1) | instskip(NEXT) | instid1(VALU_DEP_1)
	v_mul_u32_u24_e32 v5, 0x42, v2
	v_sub_nc_u32_e32 v16, v0, v5
                                        ; implicit-def: $vgpr0
	s_delay_alu instid0(VALU_DEP_1)
	v_add_nc_u32_e32 v28, 0x42, v16
	v_add_nc_u32_e32 v29, 0x84, v16
	s_wait_kmcnt 0x0
	v_mul_lo_u32 v6, s2, v10
	v_mul_lo_u32 v7, s3, v9
	v_mad_co_u64_u32 v[2:3], null, s2, v9, v[3:4]
	v_cmp_gt_u64_e32 vcc_lo, s[0:1], v[9:10]
	v_cmp_le_u64_e64 s0, s[0:1], v[9:10]
	s_delay_alu instid0(VALU_DEP_3) | instskip(NEXT) | instid1(VALU_DEP_2)
	v_add3_u32 v3, v7, v3, v6
	s_and_saveexec_b32 s1, s0
	s_wait_alu 0xfffe
	s_xor_b32 s0, exec_lo, s1
; %bb.9:
	v_add_nc_u32_e32 v0, 0x42, v16
	v_add_nc_u32_e32 v39, 0x84, v16
; %bb.10:
	s_wait_alu 0xfffe
	s_or_saveexec_b32 s1, s0
	v_lshlrev_b64_e32 v[18:19], 2, v[2:3]
	v_add_nc_u32_e32 v30, 0xc6, v16
	v_add_nc_u32_e32 v33, 0x18c, v16
	;; [unrolled: 1-line block ×8, first 2 shown]
                                        ; implicit-def: $vgpr15
                                        ; implicit-def: $vgpr20
                                        ; implicit-def: $vgpr44
                                        ; implicit-def: $vgpr3
                                        ; implicit-def: $vgpr54
                                        ; implicit-def: $vgpr5
                                        ; implicit-def: $vgpr48
                                        ; implicit-def: $vgpr38
                                        ; implicit-def: $vgpr45
                                        ; implicit-def: $vgpr6
                                        ; implicit-def: $vgpr47
                                        ; implicit-def: $vgpr36
                                        ; implicit-def: $vgpr8
                                        ; implicit-def: $vgpr22
                                        ; implicit-def: $vgpr25
                                        ; implicit-def: $vgpr2
                                        ; implicit-def: $vgpr42
                                        ; implicit-def: $vgpr4
                                        ; implicit-def: $vgpr43
                                        ; implicit-def: $vgpr50
                                        ; implicit-def: $vgpr41
                                        ; implicit-def: $vgpr13
                                        ; implicit-def: $vgpr26
                                        ; implicit-def: $vgpr40
                                        ; implicit-def: $vgpr9
                                        ; implicit-def: $vgpr37
                                        ; implicit-def: $vgpr12
                                        ; implicit-def: $vgpr7
                                        ; implicit-def: $vgpr23
                                        ; implicit-def: $vgpr10
                                        ; implicit-def: $vgpr17
                                        ; implicit-def: $vgpr49
                                        ; implicit-def: $vgpr24
                                        ; implicit-def: $vgpr11
                                        ; implicit-def: $vgpr14
                                        ; implicit-def: $vgpr46
	s_wait_alu 0xfffe
	s_xor_b32 exec_lo, exec_lo, s1
	s_cbranch_execz .LBB0_12
; %bb.11:
	v_mad_co_u64_u32 v[2:3], null, s8, v16, 0
	v_mad_co_u64_u32 v[4:5], null, s8, v30, 0
	;; [unrolled: 1-line block ×4, first 2 shown]
	s_delay_alu instid0(VALU_DEP_4) | instskip(SKIP_3) | instid1(VALU_DEP_3)
	v_dual_mov_b32 v0, v3 :: v_dual_add_nc_u32 v13, 0x252, v16
	v_add_co_u32 v17, s0, s10, v18
	s_wait_alu 0xf1ff
	v_add_co_ci_u32_e64 v49, s0, s11, v19, s0
	v_mad_co_u64_u32 v[8:9], null, s9, v16, v[0:1]
	v_dual_mov_b32 v0, v5 :: v_dual_mov_b32 v5, v7
	v_mad_co_u64_u32 v[9:10], null, s8, v13, 0
	v_mad_co_u64_u32 v[36:37], null, s8, v35, 0
	s_delay_alu instid0(VALU_DEP_3) | instskip(SKIP_4) | instid1(VALU_DEP_4)
	v_mad_co_u64_u32 v[11:12], null, s9, v30, v[0:1]
	v_mov_b32_e32 v3, v8
	v_mad_co_u64_u32 v[7:8], null, s9, v33, v[5:6]
	v_mov_b32_e32 v0, v10
	v_add_nc_u32_e32 v20, 0x3de, v16
	v_lshlrev_b64_e32 v[2:3], 2, v[2:3]
	v_mov_b32_e32 v5, v11
	v_mad_co_u64_u32 v[11:12], null, s8, v34, 0
	v_mad_co_u64_u32 v[13:14], null, s9, v13, v[0:1]
	;; [unrolled: 1-line block ×3, first 2 shown]
	s_delay_alu instid0(VALU_DEP_4)
	v_lshlrev_b64_e32 v[4:5], 2, v[4:5]
	v_add_co_u32 v2, s0, v17, v2
	v_mov_b32_e32 v0, v12
	v_mov_b32_e32 v10, v13
	v_lshlrev_b64_e32 v[6:7], 2, v[6:7]
	s_wait_alu 0xf1ff
	v_add_co_ci_u32_e64 v3, s0, v49, v3, s0
	v_mad_co_u64_u32 v[12:13], null, s9, v34, v[0:1]
	v_mov_b32_e32 v0, v15
	v_add_co_u32 v4, s0, v17, v4
	v_lshlrev_b64_e32 v[8:9], 2, v[9:10]
	s_wait_alu 0xf1ff
	v_add_co_ci_u32_e64 v5, s0, v49, v5, s0
	v_mad_co_u64_u32 v[24:25], null, s9, v20, v[0:1]
	v_mov_b32_e32 v0, v23
	v_mad_co_u64_u32 v[25:26], null, s8, v31, 0
	v_lshlrev_b64_e32 v[10:11], 2, v[11:12]
	v_add_co_u32 v6, s0, v17, v6
	v_mov_b32_e32 v15, v24
	v_mad_co_u64_u32 v[12:13], null, s9, v28, v[0:1]
	v_mov_b32_e32 v0, v26
	s_wait_alu 0xf1ff
	v_add_co_ci_u32_e64 v7, s0, v49, v7, s0
	v_add_co_u32 v8, s0, v17, v8
	v_lshlrev_b64_e32 v[13:14], 2, v[14:15]
	s_wait_alu 0xf1ff
	v_add_co_ci_u32_e64 v9, s0, v49, v9, s0
	v_add_co_u32 v10, s0, v17, v10
	v_mov_b32_e32 v23, v12
	v_mad_co_u64_u32 v[38:39], null, s9, v31, v[0:1]
	v_mov_b32_e32 v0, v37
	s_wait_alu 0xf1ff
	v_add_co_ci_u32_e64 v11, s0, v49, v11, s0
	v_add_co_u32 v12, s0, v17, v13
	v_add_nc_u32_e32 v20, 0x294, v16
	s_wait_alu 0xf1ff
	v_add_co_ci_u32_e64 v13, s0, v49, v14, s0
	v_lshlrev_b64_e32 v[14:15], 2, v[22:23]
	v_mad_co_u64_u32 v[22:23], null, s9, v35, v[0:1]
	v_mad_co_u64_u32 v[23:24], null, s8, v20, 0
	v_mov_b32_e32 v26, v38
	v_mad_co_u64_u32 v[39:40], null, s8, v32, 0
	s_delay_alu instid0(VALU_DEP_4) | instskip(NEXT) | instid1(VALU_DEP_3)
	v_dual_mov_b32 v37, v22 :: v_dual_add_nc_u32 v48, 0x420, v16
	v_lshlrev_b64_e32 v[25:26], 2, v[25:26]
	v_mov_b32_e32 v0, v24
	v_add_co_u32 v14, s0, v17, v14
	s_delay_alu instid0(VALU_DEP_4)
	v_lshlrev_b64_e32 v[36:37], 2, v[36:37]
	s_wait_alu 0xf1ff
	v_add_co_ci_u32_e64 v15, s0, v49, v15, s0
	v_mad_co_u64_u32 v[41:42], null, s9, v20, v[0:1]
	v_add_co_u32 v25, s0, v17, v25
	v_mov_b32_e32 v0, v40
	v_mad_co_u64_u32 v[44:45], null, s8, v48, 0
	s_wait_alu 0xf1ff
	v_add_co_ci_u32_e64 v26, s0, v49, v26, s0
	v_add_co_u32 v42, s0, v17, v36
	s_wait_alu 0xf1ff
	v_add_co_ci_u32_e64 v43, s0, v49, v37, s0
	v_mad_co_u64_u32 v[37:38], null, s9, v32, v[0:1]
	v_mad_co_u64_u32 v[46:47], null, s8, v29, 0
	v_mov_b32_e32 v0, v45
	v_mov_b32_e32 v24, v41
	s_clause 0x8
	global_load_b32 v20, v[2:3], off
	global_load_b32 v3, v[4:5], off
	;; [unrolled: 1-line block ×9, first 2 shown]
	v_mov_b32_e32 v40, v37
	v_mad_co_u64_u32 v[9:10], null, s9, v48, v[0:1]
	v_mov_b32_e32 v0, v47
	v_lshlrev_b64_e32 v[7:8], 2, v[23:24]
	s_delay_alu instid0(VALU_DEP_4)
	v_lshlrev_b64_e32 v[10:11], 2, v[39:40]
	v_add_nc_u32_e32 v37, 0x2d6, v16
	v_add_nc_u32_e32 v50, 0x462, v16
	v_mad_co_u64_u32 v[12:13], null, s9, v29, v[0:1]
	v_add_co_u32 v7, s0, v17, v7
	v_mad_co_u64_u32 v[13:14], null, s8, v27, 0
	s_wait_alu 0xf1ff
	v_add_co_ci_u32_e64 v8, s0, v49, v8, s0
	v_mov_b32_e32 v45, v9
	v_add_co_u32 v9, s0, v17, v10
	s_wait_alu 0xf1ff
	v_add_co_ci_u32_e64 v10, s0, v49, v11, s0
	v_mov_b32_e32 v47, v12
	v_mad_co_u64_u32 v[11:12], null, s8, v21, 0
	v_mov_b32_e32 v0, v14
	v_mad_co_u64_u32 v[25:26], null, s8, v37, 0
	v_lshlrev_b64_e32 v[23:24], 2, v[44:45]
	v_lshlrev_b64_e32 v[39:40], 2, v[46:47]
	s_delay_alu instid0(VALU_DEP_4) | instskip(SKIP_1) | instid1(VALU_DEP_4)
	v_mad_co_u64_u32 v[14:15], null, s9, v27, v[0:1]
	v_dual_mov_b32 v0, v12 :: v_dual_add_nc_u32 v15, 0x39c, v16
	v_add_co_u32 v23, s0, v17, v23
	s_wait_alu 0xf1ff
	v_add_co_ci_u32_e64 v24, s0, v49, v24, s0
	s_delay_alu instid0(VALU_DEP_3) | instskip(SKIP_4) | instid1(VALU_DEP_4)
	v_mad_co_u64_u32 v[41:42], null, s9, v21, v[0:1]
	v_mov_b32_e32 v0, v26
	v_mad_co_u64_u32 v[42:43], null, s8, v15, 0
	v_lshlrev_b64_e32 v[13:14], 2, v[13:14]
	v_add_co_u32 v47, s0, v17, v39
	v_mad_co_u64_u32 v[44:45], null, s9, v37, v[0:1]
	v_mad_co_u64_u32 v[45:46], null, s8, v50, 0
	v_mov_b32_e32 v0, v43
	s_wait_alu 0xf1ff
	v_add_co_ci_u32_e64 v48, s0, v49, v40, s0
	v_add_co_u32 v51, s0, v17, v13
	s_delay_alu instid0(VALU_DEP_3)
	v_mad_co_u64_u32 v[39:40], null, s9, v15, v[0:1]
	v_mov_b32_e32 v0, v46
	v_mov_b32_e32 v12, v41
	s_wait_alu 0xf1ff
	v_add_co_ci_u32_e64 v52, s0, v49, v14, s0
	v_mov_b32_e32 v26, v44
	v_mad_co_u64_u32 v[13:14], null, s9, v50, v[0:1]
	v_lshlrev_b64_e32 v[11:12], 2, v[11:12]
	v_mov_b32_e32 v43, v39
	s_delay_alu instid0(VALU_DEP_4)
	v_lshlrev_b64_e32 v[14:15], 2, v[25:26]
	v_mov_b32_e32 v0, v28
	v_mov_b32_e32 v46, v13
	v_add_co_u32 v11, s0, v17, v11
	v_lshlrev_b64_e32 v[25:26], 2, v[42:43]
	s_wait_alu 0xf1ff
	v_add_co_ci_u32_e64 v12, s0, v49, v12, s0
	v_add_co_u32 v14, s0, v17, v14
	v_lshlrev_b64_e32 v[39:40], 2, v[45:46]
	s_wait_alu 0xf1ff
	v_add_co_ci_u32_e64 v15, s0, v49, v15, s0
	v_add_co_u32 v25, s0, v17, v25
	s_wait_alu 0xf1ff
	v_add_co_ci_u32_e64 v26, s0, v49, v26, s0
	v_add_co_u32 v41, s0, v17, v39
	v_mov_b32_e32 v39, v29
	s_wait_alu 0xf1ff
	v_add_co_ci_u32_e64 v42, s0, v49, v40, s0
	s_clause 0x8
	global_load_b32 v50, v[7:8], off
	global_load_b32 v13, v[9:10], off
	;; [unrolled: 1-line block ×9, first 2 shown]
	s_wait_loadcnt 0x11
	v_lshrrev_b32_e32 v15, 16, v20
	s_wait_loadcnt 0x10
	v_lshrrev_b32_e32 v44, 16, v3
	;; [unrolled: 2-line block ×18, first 2 shown]
.LBB0_12:
	s_or_b32 exec_lo, exec_lo, s1
	v_mul_hi_u32 v51, 0xaaaaaaab, v1
	v_add_f16_e32 v53, v5, v6
	v_add_f16_e32 v52, v20, v5
	v_sub_f16_e32 v55, v54, v45
	v_add_f16_e32 v57, v3, v38
	v_add_f16_e32 v56, v48, v47
	v_fmac_f16_e32 v20, -0.5, v53
	v_add_f16_e32 v58, v38, v36
	v_lshrrev_b32_e32 v51, 1, v51
	v_sub_f16_e32 v38, v38, v36
	v_add_f16_e32 v52, v52, v6
	v_fmamk_f16 v53, v55, 0xbaee, v20
	v_add_f16_e32 v36, v57, v36
	v_lshl_add_u32 v51, v51, 1, v51
	v_fmac_f16_e32 v20, 0x3aee, v55
	v_add_f16_e32 v60, v43, v26
	v_fma_f16 v56, -0.5, v56, v44
	v_add_f16_e32 v57, v52, v36
	v_sub_nc_u32_e32 v1, v1, v51
	v_sub_f16_e32 v36, v52, v36
	v_add_f16_e32 v61, v50, v40
	v_sub_f16_e32 v59, v48, v47
	v_fmac_f16_e32 v3, -0.5, v58
	v_mul_u32_u24_e32 v55, 0x4a4, v1
	v_add_f16_e32 v1, v22, v4
	v_fmamk_f16 v71, v38, 0x3aee, v56
	v_add_f16_e32 v62, v4, v13
	v_fmac_f16_e32 v56, 0xbaee, v38
	v_fmamk_f16 v72, v59, 0xbaee, v3
	v_add_f16_e32 v52, v1, v13
	v_fma_f16 v1, -0.5, v60, v25
	v_sub_f16_e32 v60, v50, v40
	v_add_f16_e32 v50, v2, v50
	v_fmac_f16_e32 v2, -0.5, v61
	v_sub_f16_e32 v61, v43, v26
	v_mul_f16_e32 v38, 0xbaee, v71
	v_fmamk_f16 v73, v60, 0x3aee, v1
	v_fmac_f16_e32 v1, 0xbaee, v60
	v_fmac_f16_e32 v22, -0.5, v62
	v_sub_f16_e32 v60, v42, v41
	v_fmamk_f16 v74, v61, 0xbaee, v2
	v_fmac_f16_e32 v2, 0x3aee, v61
	v_mul_f16_e32 v62, 0xbaee, v1
	v_fmac_f16_e32 v38, 0.5, v72
	v_fmamk_f16 v63, v60, 0xbaee, v22
	v_fmac_f16_e32 v22, 0x3aee, v60
	v_add_f16_e32 v40, v50, v40
	v_fmac_f16_e32 v62, -0.5, v2
	v_add_f16_e32 v58, v53, v38
	v_sub_f16_e32 v53, v53, v38
	v_add_f16_e32 v38, v10, v11
	v_add_f16_e32 v60, v52, v40
	;; [unrolled: 1-line block ×3, first 2 shown]
	v_sub_f16_e32 v66, v52, v40
	v_sub_f16_e32 v40, v22, v62
	v_add_f16_e32 v22, v17, v14
	v_add_f16_e32 v50, v37, v10
	v_fmac_f16_e32 v37, -0.5, v38
	v_add_f16_e32 v38, v49, v46
	v_fmac_f16_e32 v3, 0x3aee, v59
	v_mul_f16_e32 v51, 0xbaee, v56
	v_fma_f16 v75, -0.5, v22, v12
	v_sub_f16_e32 v22, v49, v46
	v_mul_f16_e32 v61, 0xbaee, v73
	v_add_f16_e32 v49, v7, v49
	v_fmac_f16_e32 v7, -0.5, v38
	v_sub_f16_e32 v38, v17, v14
	v_fmac_f16_e32 v51, -0.5, v3
	v_fmamk_f16 v76, v22, 0x3aee, v75
	v_fmac_f16_e32 v61, 0.5, v74
	v_fmac_f16_e32 v75, 0xbaee, v22
	v_fmamk_f16 v77, v38, 0xbaee, v7
	v_fmac_f16_e32 v7, 0x3aee, v38
	v_lshlrev_b32_e32 v38, 1, v55
	v_add_f16_e32 v59, v20, v51
	v_sub_f16_e32 v20, v20, v51
	v_sub_f16_e32 v51, v23, v24
	v_mul_f16_e32 v62, 0xbaee, v76
	v_add_f16_e32 v64, v63, v61
	v_sub_f16_e32 v61, v63, v61
	v_add_f16_e32 v52, v50, v11
	v_mul_f16_e32 v63, 0xbaee, v75
	v_add_f16_e32 v46, v49, v46
	v_mul_u32_u24_e32 v55, 6, v16
	v_add_nc_u32_e32 v67, 0, v38
	v_fmamk_f16 v22, v51, 0xbaee, v37
	v_fmac_f16_e32 v62, 0.5, v77
	v_fmac_f16_e32 v37, 0x3aee, v51
	v_fmac_f16_e32 v63, -0.5, v7
	v_add_f16_e32 v49, v52, v46
	v_sub_f16_e32 v52, v52, v46
	v_lshl_add_u32 v82, v55, 1, v67
	v_pack_b32_f16 v36, v59, v36
	v_pack_b32_f16 v46, v57, v58
	;; [unrolled: 1-line block ×3, first 2 shown]
	v_add_f16_e32 v50, v22, v62
	v_sub_f16_e32 v53, v22, v62
	v_mul_i32_i24_e32 v22, 6, v0
	v_add_f16_e32 v51, v37, v63
	ds_store_2addr_b32 v82, v46, v36 offset1:1
	ds_store_b32 v82, v20 offset:8
	v_mul_i32_i24_e32 v20, 6, v39
	v_sub_f16_e32 v55, v37, v63
	v_lshl_add_u32 v83, v22, 1, v67
	v_pack_b32_f16 v36, v65, v66
	v_pack_b32_f16 v37, v60, v64
	v_lshlrev_b32_e32 v22, 1, v16
	v_pack_b32_f16 v46, v61, v40
	v_lshl_add_u32 v84, v20, 1, v67
	v_pack_b32_f16 v20, v51, v52
	v_pack_b32_f16 v57, v49, v50
	;; [unrolled: 1-line block ×3, first 2 shown]
	ds_store_2addr_b32 v83, v37, v36 offset1:1
	ds_store_b32 v83, v46 offset:8
	ds_store_2addr_b32 v84, v57, v20 offset1:1
	ds_store_b32 v84, v58 offset:8
	v_add_nc_u32_e32 v36, v67, v22
	v_add3_u32 v37, 0, v22, v38
	global_wb scope:SCOPE_SE
	s_wait_dscnt 0x0
	s_barrier_signal -1
	s_barrier_wait -1
	global_inv scope:SCOPE_SE
	ds_load_u16 v46, v36
	ds_load_u16 v70, v37 offset:216
	ds_load_u16 v68, v37 offset:432
	ds_load_u16 v67, v37 offset:648
	ds_load_u16 v65, v37 offset:864
	ds_load_u16 v64, v37 offset:1080
	ds_load_u16 v62, v37 offset:1296
	ds_load_u16 v60, v37 offset:1512
	ds_load_u16 v59, v37 offset:1728
	ds_load_u16 v58, v37 offset:1944
	ds_load_u16 v57, v37 offset:2160
	v_cmp_gt_u32_e64 s0, 42, v16
	v_lshlrev_b32_e32 v20, 1, v0
                                        ; implicit-def: $vgpr61
                                        ; implicit-def: $vgpr63
                                        ; implicit-def: $vgpr66
                                        ; implicit-def: $vgpr69
	s_delay_alu instid0(VALU_DEP_2)
	s_and_saveexec_b32 s1, s0
	s_cbranch_execz .LBB0_14
; %bb.13:
	s_delay_alu instid0(VALU_DEP_1)
	v_add3_u32 v40, 0, v20, v38
	ds_load_u16 v49, v37 offset:348
	ds_load_u16 v50, v37 offset:564
	;; [unrolled: 1-line block ×9, first 2 shown]
	ds_load_u16 v40, v40
	ds_load_u16 v61, v37 offset:2292
.LBB0_14:
	s_wait_alu 0xfffe
	s_or_b32 exec_lo, exec_lo, s1
	v_sub_f16_e32 v5, v5, v6
	v_add_f16_e32 v6, v44, v48
	v_mul_f16_e32 v48, -0.5, v56
	v_add_f16_e32 v56, v42, v41
	v_add_f16_e32 v42, v8, v42
	;; [unrolled: 1-line block ×3, first 2 shown]
	v_sub_f16_e32 v4, v4, v13
	v_add_f16_e32 v78, v54, v45
	v_fmac_f16_e32 v8, -0.5, v56
	v_add_f16_e32 v54, v15, v54
	v_add_f16_e32 v25, v25, v26
	v_mul_f16_e32 v44, 0x3aee, v72
	v_fmac_f16_e32 v15, -0.5, v78
	v_fmamk_f16 v26, v4, 0x3aee, v8
	v_fmac_f16_e32 v8, 0xbaee, v4
	v_add_f16_e32 v4, v23, v24
	v_add_f16_e32 v23, v9, v23
	v_mul_f16_e32 v13, 0x3aee, v74
	v_mul_f16_e32 v1, -0.5, v1
	v_add_f16_e32 v45, v54, v45
	v_fmac_f16_e32 v9, -0.5, v4
	v_sub_f16_e32 v4, v10, v11
	v_add_f16_e32 v10, v23, v24
	v_add_f16_e32 v11, v12, v17
	v_mul_f16_e32 v12, 0x3aee, v77
	v_mul_f16_e32 v23, -0.5, v75
	v_add_f16_e32 v6, v6, v47
	v_fmac_f16_e32 v44, 0.5, v71
	v_fmamk_f16 v47, v5, 0x3aee, v15
	v_fmac_f16_e32 v48, 0x3aee, v3
	v_fmac_f16_e32 v15, 0xbaee, v5
	v_add_f16_e32 v41, v42, v41
	v_fmac_f16_e32 v13, 0.5, v73
	v_fmac_f16_e32 v1, 0x3aee, v2
	v_fmamk_f16 v24, v4, 0x3aee, v9
	v_fmac_f16_e32 v9, 0xbaee, v4
	v_add_f16_e32 v4, v11, v14
	v_fmac_f16_e32 v12, 0.5, v76
	v_fmac_f16_e32 v23, 0x3aee, v7
	v_add_f16_e32 v3, v45, v6
	v_add_f16_e32 v5, v47, v44
	v_add_f16_e32 v54, v15, v48
	v_sub_f16_e32 v6, v45, v6
	v_sub_f16_e32 v44, v47, v44
	v_sub_f16_e32 v15, v15, v48
	v_add_f16_e32 v2, v41, v25
	v_add_f16_e32 v42, v26, v13
	v_add_f16_e32 v43, v8, v1
	v_sub_f16_e32 v25, v41, v25
	v_sub_f16_e32 v7, v26, v13
	v_sub_f16_e32 v17, v8, v1
	v_add_f16_e32 v76, v10, v4
	v_add_f16_e32 v77, v24, v12
	v_add_f16_e32 v78, v9, v23
	v_sub_f16_e32 v79, v10, v4
	v_sub_f16_e32 v80, v24, v12
	v_sub_f16_e32 v81, v9, v23
	v_pack_b32_f16 v1, v54, v6
	v_pack_b32_f16 v3, v3, v5
	;; [unrolled: 1-line block ×8, first 2 shown]
	global_wb scope:SCOPE_SE
	s_wait_dscnt 0x0
	s_barrier_signal -1
	s_barrier_wait -1
	global_inv scope:SCOPE_SE
	v_pack_b32_f16 v9, v80, v81
	ds_store_2addr_b32 v82, v3, v1 offset1:1
	ds_store_b32 v82, v4 offset:8
	ds_store_2addr_b32 v83, v2, v5 offset1:1
	ds_store_b32 v83, v6 offset:8
	;; [unrolled: 2-line block ×3, first 2 shown]
	global_wb scope:SCOPE_SE
	s_wait_dscnt 0x0
	s_barrier_signal -1
	s_barrier_wait -1
	global_inv scope:SCOPE_SE
	ds_load_u16 v41, v36
	ds_load_u16 v97, v37 offset:216
	ds_load_u16 v96, v37 offset:432
	;; [unrolled: 1-line block ×10, first 2 shown]
                                        ; implicit-def: $vgpr86
                                        ; implicit-def: $vgpr88
                                        ; implicit-def: $vgpr91
                                        ; implicit-def: $vgpr94
	s_and_saveexec_b32 s1, s0
	s_cbranch_execz .LBB0_16
; %bb.15:
	v_add3_u32 v1, 0, v20, v38
	ds_load_u16 v76, v37 offset:348
	ds_load_u16 v77, v37 offset:564
	ds_load_u16 v78, v37 offset:780
	ds_load_u16 v79, v37 offset:996
	ds_load_u16 v80, v37 offset:1212
	ds_load_u16 v81, v37 offset:1428
	ds_load_u16 v94, v37 offset:1644
	ds_load_u16 v91, v37 offset:1860
	ds_load_u16 v88, v37 offset:2076
	ds_load_u16 v17, v1
	ds_load_u16 v86, v37 offset:2292
.LBB0_16:
	s_wait_alu 0xfffe
	s_or_b32 exec_lo, exec_lo, s1
	v_and_b32_e32 v1, 0xff, v16
	v_and_b32_e32 v2, 0xff, v0
	s_delay_alu instid0(VALU_DEP_2) | instskip(NEXT) | instid1(VALU_DEP_1)
	v_mul_lo_u16 v1, 0xab, v1
	v_lshrrev_b16 v43, 10, v1
	s_delay_alu instid0(VALU_DEP_3) | instskip(NEXT) | instid1(VALU_DEP_2)
	v_mul_lo_u16 v1, 0xab, v2
	v_mul_lo_u16 v2, v43, 6
	s_delay_alu instid0(VALU_DEP_2) | instskip(SKIP_1) | instid1(VALU_DEP_3)
	v_lshrrev_b16 v42, 10, v1
	v_and_b32_e32 v43, 0xffff, v43
	v_sub_nc_u16 v1, v16, v2
	s_delay_alu instid0(VALU_DEP_3) | instskip(NEXT) | instid1(VALU_DEP_3)
	v_mul_lo_u16 v2, v42, 6
	v_mad_u32_u24 v47, 0x84, v43, 0
	v_and_b32_e32 v43, 0xffff, v42
	s_delay_alu instid0(VALU_DEP_4) | instskip(NEXT) | instid1(VALU_DEP_4)
	v_and_b32_e32 v44, 0xff, v1
	v_sub_nc_u16 v0, v0, v2
	s_delay_alu instid0(VALU_DEP_2) | instskip(NEXT) | instid1(VALU_DEP_2)
	v_mul_u32_u24_e32 v1, 10, v44
	v_and_b32_e32 v45, 0xff, v0
	v_lshlrev_b32_e32 v44, 1, v44
	s_delay_alu instid0(VALU_DEP_3) | instskip(NEXT) | instid1(VALU_DEP_3)
	v_lshlrev_b32_e32 v0, 2, v1
	v_mul_u32_u24_e32 v1, 10, v45
	v_lshlrev_b32_e32 v42, 1, v45
	s_delay_alu instid0(VALU_DEP_4)
	v_add3_u32 v72, v47, v44, v38
	s_clause 0x1
	global_load_b128 v[8:11], v0, s[4:5]
	global_load_b128 v[4:7], v0, s[4:5] offset:16
	v_lshlrev_b32_e32 v25, 2, v1
	s_clause 0x3
	global_load_b64 v[23:24], v0, s[4:5] offset:32
	global_load_b128 v[0:3], v25, s[4:5]
	global_load_b128 v[12:15], v25, s[4:5] offset:16
	global_load_b64 v[25:26], v25, s[4:5] offset:32
	global_wb scope:SCOPE_SE
	s_wait_loadcnt_dscnt 0x0
	s_barrier_signal -1
	s_barrier_wait -1
	global_inv scope:SCOPE_SE
	v_lshrrev_b32_e32 v44, 16, v8
	v_lshrrev_b32_e32 v45, 16, v9
	;; [unrolled: 1-line block ×15, first 2 shown]
	v_mul_f16_e32 v104, v97, v44
	v_mul_f16_e32 v116, v70, v44
	;; [unrolled: 1-line block ×19, first 2 shown]
	v_lshrrev_b32_e32 v106, 16, v0
	v_lshrrev_b32_e32 v109, 16, v3
	;; [unrolled: 1-line block ×5, first 2 shown]
	v_mul_f16_e32 v82, v92, v54
	v_mul_f16_e32 v71, v77, v107
	v_mul_f16_e32 v107, v50, v107
	v_mul_f16_e32 v54, v78, v108
	v_mul_f16_e32 v44, v80, v110
	v_mul_f16_e32 v110, v53, v110
	v_mul_f16_e32 v48, v94, v112
	v_mul_f16_e32 v112, v69, v112
	v_mul_f16_e32 v73, v88, v114
	v_mul_f16_e32 v114, v63, v114
	v_fmac_f16_e32 v104, v70, v8
	v_fma_f16 v70, v97, v8, -v116
	v_fmac_f16_e32 v102, v68, v9
	v_fma_f16 v68, v96, v9, -v117
	;; [unrolled: 2-line block ×4, first 2 shown]
	v_fma_f16 v11, v92, v4, -v120
	v_fmac_f16_e32 v83, v62, v5
	v_fma_f16 v62, v90, v5, -v121
	v_fmac_f16_e32 v99, v60, v6
	v_fma_f16 v6, v89, v6, -v122
	v_fmac_f16_e32 v101, v59, v7
	v_fma_f16 v7, v87, v7, -v123
	v_fmac_f16_e32 v103, v58, v23
	v_fma_f16 v58, v85, v23, -v124
	v_fmac_f16_e32 v105, v57, v24
	v_fma_f16 v24, v84, v24, -v125
	v_mul_f16_e32 v74, v76, v106
	v_mul_f16_e32 v106, v49, v106
	;; [unrolled: 1-line block ×11, first 2 shown]
	v_fmac_f16_e32 v82, v64, v4
	v_fmac_f16_e32 v71, v50, v1
	v_fma_f16 v23, v77, v1, -v107
	v_fmac_f16_e32 v54, v51, v2
	v_fmac_f16_e32 v44, v53, v12
	v_fma_f16 v1, v80, v12, -v110
	v_fmac_f16_e32 v48, v69, v14
	v_fma_f16 v4, v94, v14, -v112
	;; [unrolled: 2-line block ×3, first 2 shown]
	v_sub_f16_e32 v12, v70, v24
	v_sub_f16_e32 v14, v68, v58
	;; [unrolled: 1-line block ×5, first 2 shown]
	v_add_f16_e32 v53, v46, v104
	v_fmac_f16_e32 v74, v49, v0
	v_fma_f16 v49, v76, v0, -v106
	v_fma_f16 v5, v78, v2, -v108
	v_fmac_f16_e32 v47, v52, v3
	v_fma_f16 v3, v79, v3, -v109
	v_fmac_f16_e32 v45, v55, v13
	;; [unrolled: 2-line block ×4, first 2 shown]
	v_fma_f16 v9, v86, v26, -v115
	v_add_f16_e32 v0, v104, v105
	v_add_f16_e32 v13, v102, v103
	;; [unrolled: 1-line block ×5, first 2 shown]
	v_mul_f16_e32 v55, 0xb853, v12
	v_mul_f16_e32 v57, 0xbb47, v12
	;; [unrolled: 1-line block ×25, first 2 shown]
	v_add_f16_e32 v53, v53, v102
	v_fmamk_f16 v89, v0, 0x3abb, v55
	v_fma_f16 v55, v0, 0x3abb, -v55
	v_fmamk_f16 v90, v0, 0x36a6, v57
	v_fma_f16 v57, v0, 0x36a6, -v57
	;; [unrolled: 2-line block ×25, first 2 shown]
	v_add_f16_e32 v52, v53, v100
	v_add_f16_e32 v53, v46, v89
	;; [unrolled: 1-line block ×58, first 2 shown]
	ds_store_b16 v72, v15 offset:24
	ds_store_b16 v72, v26 offset:36
	;; [unrolled: 1-line block ×7, first 2 shown]
	ds_store_b16 v72, v14
	ds_store_b16 v72, v46 offset:96
	ds_store_b16 v72, v25 offset:108
	;; [unrolled: 1-line block ×3, first 2 shown]
	s_and_saveexec_b32 s1, s0
	s_cbranch_execz .LBB0_18
; %bb.17:
	v_sub_f16_e32 v13, v49, v9
	v_add_f16_e32 v12, v74, v75
	v_sub_f16_e32 v15, v23, v10
	v_add_f16_e32 v14, v71, v73
	v_sub_f16_e32 v26, v5, v8
	v_mul_f16_e32 v53, 0xb482, v13
	v_add_f16_e32 v25, v54, v56
	v_mul_f16_e32 v55, 0x3853, v15
	v_sub_f16_e32 v50, v3, v4
	v_mul_f16_e32 v57, 0xba0c, v26
	v_fma_f16 v61, v12, 0xbbad, -v53
	v_add_f16_e32 v46, v47, v48
	v_fma_f16 v66, v14, 0x3abb, -v55
	v_sub_f16_e32 v52, v1, v2
	v_mul_f16_e32 v59, 0x3b47, v50
	v_add_f16_e32 v61, v40, v61
	v_fma_f16 v69, v25, 0xb93d, -v57
	v_fmac_f16_e32 v53, 0xbbad, v12
	v_add_f16_e32 v51, v44, v45
	v_mul_f16_e32 v60, 0xbbeb, v52
	v_add_f16_e32 v61, v66, v61
	v_mul_f16_e32 v63, 0xba0c, v13
	v_fma_f16 v76, v46, 0x36a6, -v59
	v_fmac_f16_e32 v55, 0x3abb, v14
	v_add_f16_e32 v53, v40, v53
	v_add_f16_e32 v61, v69, v61
	v_mul_f16_e32 v64, 0x3beb, v15
	v_fma_f16 v66, v51, 0xb08e, -v60
	v_fmac_f16_e32 v57, 0xb93d, v25
	v_fma_f16 v69, v12, 0xb93d, -v63
	v_add_f16_e32 v53, v55, v53
	v_add_f16_e32 v55, v76, v61
	v_fmac_f16_e32 v59, 0x36a6, v46
	v_fmac_f16_e32 v60, 0xb08e, v51
	v_add_f16_e32 v61, v40, v69
	v_add_f16_e32 v53, v57, v53
	;; [unrolled: 1-line block ×3, first 2 shown]
	v_fma_f16 v57, v14, 0xb08e, -v64
	v_mul_f16_e32 v66, 0xb853, v26
	v_fmac_f16_e32 v63, 0xb93d, v12
	v_add_f16_e32 v53, v59, v53
	v_fmac_f16_e32 v64, 0xb08e, v14
	v_add_f16_e32 v57, v57, v61
	v_fma_f16 v59, v25, 0x3abb, -v66
	v_mul_f16_e32 v61, 0xb482, v50
	v_add_f16_e32 v53, v60, v53
	v_add_f16_e32 v60, v40, v63
	v_mul_f16_e32 v63, 0xbbeb, v13
	v_add_f16_e32 v57, v59, v57
	v_fma_f16 v59, v46, 0xbbad, -v61
	v_fmac_f16_e32 v66, 0x3abb, v25
	v_add_f16_e32 v60, v64, v60
	v_mul_f16_e32 v64, 0x3482, v15
	v_add_f16_e32 v0, v40, v74
	v_add_f16_e32 v57, v59, v57
	v_fma_f16 v59, v12, 0xb08e, -v63
	v_fmac_f16_e32 v63, 0xb08e, v12
	v_mul_f16_e32 v69, 0x3b47, v52
	v_add_f16_e32 v60, v66, v60
	v_fmac_f16_e32 v61, 0xbbad, v46
	v_add_f16_e32 v59, v40, v59
	v_fma_f16 v66, v14, 0xbbad, -v64
	v_mul_f16_e32 v77, 0x3b47, v26
	v_add_f16_e32 v63, v40, v63
	v_fmac_f16_e32 v64, 0xbbad, v14
	v_add_f16_e32 v0, v0, v71
	v_fma_f16 v76, v51, 0x36a6, -v69
	v_add_f16_e32 v60, v61, v60
	v_add_f16_e32 v59, v66, v59
	v_fma_f16 v61, v25, 0x36a6, -v77
	v_mul_f16_e32 v66, 0xb853, v50
	v_fmac_f16_e32 v69, 0x36a6, v51
	v_add_f16_e32 v63, v64, v63
	v_fmac_f16_e32 v77, 0x36a6, v25
	v_add_f16_e32 v0, v0, v54
	v_add_f16_e32 v57, v76, v57
	;; [unrolled: 1-line block ×3, first 2 shown]
	v_fma_f16 v61, v46, 0x3abb, -v66
	v_mul_f16_e32 v76, 0xbb47, v13
	v_add_f16_e32 v60, v69, v60
	v_mul_f16_e32 v69, 0xba0c, v52
	v_add_f16_e32 v63, v77, v63
	v_fmac_f16_e32 v66, 0x3abb, v46
	v_add_f16_e32 v0, v0, v47
	v_add_f16_e32 v59, v61, v59
	v_fma_f16 v61, v12, 0x36a6, -v76
	v_mul_f16_e32 v64, 0xba0c, v15
	v_fma_f16 v79, v51, 0xb93d, -v69
	v_add_f16_e32 v63, v66, v63
	v_fmac_f16_e32 v69, 0xb93d, v51
	v_fmac_f16_e32 v76, 0x36a6, v12
	v_mul_f16_e32 v13, 0xb853, v13
	v_add_f16_e32 v0, v0, v44
	v_fma_f16 v77, v14, 0xb93d, -v64
	v_add_f16_e32 v59, v79, v59
	v_add_f16_e32 v63, v69, v63
	;; [unrolled: 1-line block ×3, first 2 shown]
	v_fmac_f16_e32 v64, 0xb93d, v14
	v_mul_f16_e32 v15, 0xbb47, v15
	v_fma_f16 v79, v12, 0x3abb, -v13
	v_fmac_f16_e32 v13, 0x3abb, v12
	v_add_f16_e32 v0, v0, v45
	v_add_f16_e32 v61, v40, v61
	v_mul_f16_e32 v78, 0x3482, v26
	v_add_f16_e32 v12, v64, v69
	v_fma_f16 v64, v14, 0x36a6, -v15
	v_mul_f16_e32 v26, 0xbbeb, v26
	v_add_f16_e32 v13, v40, v13
	v_fmac_f16_e32 v15, 0x36a6, v14
	v_add_f16_e32 v0, v0, v48
	v_add_f16_e32 v14, v40, v79
	;; [unrolled: 1-line block ×3, first 2 shown]
	v_mul_f16_e32 v77, 0x3beb, v50
	v_fma_f16 v40, v25, 0xb08e, -v26
	v_mul_f16_e32 v50, 0xba0c, v50
	v_add_f16_e32 v13, v15, v13
	v_fmac_f16_e32 v26, 0xb08e, v25
	v_fma_f16 v66, v25, 0xbbad, -v78
	v_fmac_f16_e32 v78, 0xbbad, v25
	v_add_f16_e32 v0, v0, v56
	v_add_f16_e32 v14, v64, v14
	v_fma_f16 v15, v46, 0xb93d, -v50
	v_mul_f16_e32 v25, 0xb482, v52
	v_add_f16_e32 v13, v26, v13
	v_fmac_f16_e32 v50, 0xb93d, v46
	v_add_f16_e32 v61, v66, v61
	v_fma_f16 v66, v46, 0xb08e, -v77
	v_mul_f16_e32 v76, 0x3853, v52
	v_add_f16_e32 v12, v78, v12
	v_fmac_f16_e32 v77, 0xb08e, v46
	v_add_f16_e32 v0, v0, v73
	v_add_f16_e32 v14, v40, v14
	v_mad_u32_u24 v46, 0x84, v43, 0
	v_fma_f16 v40, v51, 0xbbad, -v25
	v_add_f16_e32 v13, v50, v13
	v_fmac_f16_e32 v25, 0xbbad, v51
	v_fma_f16 v26, v51, 0x3abb, -v76
	v_add_f16_e32 v12, v77, v12
	v_fmac_f16_e32 v76, 0x3abb, v51
	v_add_f16_e32 v0, v0, v75
	v_add_f16_e32 v50, v66, v61
	;; [unrolled: 1-line block ×3, first 2 shown]
	v_add3_u32 v15, v46, v42, v38
	v_add_f16_e32 v13, v25, v13
	v_add_f16_e32 v12, v76, v12
	;; [unrolled: 1-line block ×4, first 2 shown]
	ds_store_b16 v15, v0
	ds_store_b16 v15, v13 offset:12
	ds_store_b16 v15, v12 offset:24
	;; [unrolled: 1-line block ×10, first 2 shown]
.LBB0_18:
	s_wait_alu 0xfffe
	s_or_b32 exec_lo, exec_lo, s1
	v_add_f16_e32 v0, v41, v70
	v_add_f16_e32 v12, v70, v24
	v_sub_f16_e32 v13, v104, v105
	v_add_f16_e32 v14, v68, v58
	v_sub_f16_e32 v15, v102, v103
	v_add_f16_e32 v0, v0, v68
	v_mul_f16_e32 v25, 0x3abb, v12
	v_mul_f16_e32 v26, 0x36a6, v12
	;; [unrolled: 1-line block ×4, first 2 shown]
	v_add_f16_e32 v0, v0, v67
	v_mul_f16_e32 v12, 0xbbad, v12
	v_mul_f16_e32 v50, 0x36a6, v14
	v_fmamk_f16 v53, v13, 0x3853, v25
	v_fmac_f16_e32 v25, 0xb853, v13
	v_add_f16_e32 v0, v0, v65
	v_fmamk_f16 v60, v13, 0x3482, v12
	v_mul_f16_e32 v51, 0xb93d, v14
	v_mul_f16_e32 v52, 0xbbad, v14
	v_fmamk_f16 v55, v13, 0x3b47, v26
	v_add_f16_e32 v0, v0, v11
	v_fmac_f16_e32 v26, 0xbb47, v13
	v_fmamk_f16 v57, v13, 0x3beb, v40
	v_fmac_f16_e32 v40, 0xbbeb, v13
	v_fmamk_f16 v59, v13, 0x3a0c, v46
	v_add_f16_e32 v0, v0, v62
	v_fmac_f16_e32 v46, 0xba0c, v13
	v_fmac_f16_e32 v12, 0xb482, v13
	v_fmamk_f16 v13, v15, 0x3b47, v50
	v_fmac_f16_e32 v50, 0xbb47, v15
	v_add_f16_e32 v0, v0, v6
	v_add_f16_e32 v25, v41, v25
	v_fmamk_f16 v61, v15, 0x3a0c, v51
	v_add_f16_e32 v53, v41, v53
	v_add_f16_e32 v26, v41, v26
	;; [unrolled: 1-line block ×5, first 2 shown]
	v_fmac_f16_e32 v51, 0xba0c, v15
	v_add_f16_e32 v7, v67, v7
	v_add_f16_e32 v0, v0, v58
	;; [unrolled: 1-line block ×7, first 2 shown]
	v_mul_f16_e32 v24, 0xb08e, v14
	v_add_f16_e32 v0, v50, v25
	v_fmamk_f16 v25, v15, 0xb482, v52
	v_fmac_f16_e32 v52, 0x3482, v15
	v_mul_f16_e32 v14, 0x3abb, v14
	v_fmamk_f16 v50, v15, 0xbbeb, v24
	v_fmac_f16_e32 v24, 0x3beb, v15
	v_add_f16_e32 v26, v51, v26
	v_add_f16_e32 v40, v52, v40
	v_fmamk_f16 v51, v15, 0xb853, v14
	v_sub_f16_e32 v52, v100, v101
	v_mul_f16_e32 v53, 0xb08e, v7
	v_fmac_f16_e32 v14, 0x3853, v15
	v_add_f16_e32 v15, v24, v46
	v_mul_f16_e32 v46, 0xbbad, v7
	v_add_f16_e32 v57, v41, v57
	v_add_f16_e32 v59, v41, v59
	;; [unrolled: 1-line block ×4, first 2 shown]
	v_fmamk_f16 v51, v52, 0x3beb, v53
	v_add_f16_e32 v12, v14, v12
	v_mul_f16_e32 v14, 0x36a6, v7
	v_fmamk_f16 v55, v52, 0xb482, v46
	v_fmac_f16_e32 v46, 0x3482, v52
	v_fmac_f16_e32 v53, 0xbbeb, v52
	v_add_f16_e32 v13, v51, v13
	v_fmamk_f16 v51, v52, 0xbb47, v14
	v_fmac_f16_e32 v14, 0x3b47, v52
	v_add_f16_e32 v26, v46, v26
	v_mul_f16_e32 v46, 0x3abb, v7
	v_add_f16_e32 v6, v65, v6
	v_add_f16_e32 v25, v25, v57
	;; [unrolled: 1-line block ×5, first 2 shown]
	v_mul_f16_e32 v7, 0xb93d, v7
	v_add_f16_e32 v14, v14, v40
	v_fmamk_f16 v40, v52, 0x3853, v46
	v_fmac_f16_e32 v46, 0xb853, v52
	v_sub_f16_e32 v53, v98, v99
	v_mul_f16_e32 v55, 0xb93d, v6
	v_add_f16_e32 v25, v51, v25
	v_fmamk_f16 v51, v52, 0x3a0c, v7
	v_add_f16_e32 v40, v40, v50
	v_add_f16_e32 v15, v46, v15
	v_fmac_f16_e32 v7, 0xba0c, v52
	v_fmamk_f16 v46, v53, 0x3a0c, v55
	v_mul_f16_e32 v50, 0xb08e, v6
	v_mul_f16_e32 v52, 0xbbad, v6
	v_add_f16_e32 v24, v51, v24
	v_add_f16_e32 v7, v7, v12
	v_mul_f16_e32 v12, 0x3abb, v6
	v_add_f16_e32 v13, v46, v13
	v_fmamk_f16 v46, v53, 0xbbeb, v50
	v_mul_f16_e32 v6, 0x36a6, v6
	v_add_f16_e32 v11, v11, v62
	v_fmamk_f16 v51, v53, 0x3853, v12
	v_fmac_f16_e32 v12, 0xb853, v53
	v_add_f16_e32 v41, v46, v41
	v_fmamk_f16 v46, v53, 0x3482, v52
	v_fmac_f16_e32 v55, 0xba0c, v53
	v_fmac_f16_e32 v52, 0xb482, v53
	v_add_f16_e32 v12, v12, v14
	v_fmamk_f16 v14, v53, 0xbb47, v6
	v_add_f16_e32 v59, v46, v40
	v_sub_f16_e32 v40, v82, v83
	v_mul_f16_e32 v46, 0xbbad, v11
	v_fmac_f16_e32 v6, 0x3b47, v53
	v_add_f16_e32 v0, v55, v0
	v_add_f16_e32 v61, v52, v15
	;; [unrolled: 1-line block ×3, first 2 shown]
	v_fmamk_f16 v15, v40, 0x3482, v46
	v_fmac_f16_e32 v46, 0xb482, v40
	v_add_f16_e32 v63, v6, v7
	v_mul_f16_e32 v6, 0xb93d, v11
	v_add_f16_e32 v62, v14, v24
	v_mul_f16_e32 v14, 0x3abb, v11
	v_add_f16_e32 v65, v46, v0
	v_fmac_f16_e32 v50, 0x3beb, v53
	v_fmamk_f16 v0, v40, 0x3a0c, v6
	v_fmac_f16_e32 v6, 0xba0c, v40
	v_fmamk_f16 v7, v40, 0xb853, v14
	v_fmac_f16_e32 v14, 0x3853, v40
	v_add_f16_e32 v26, v50, v26
	v_add_f16_e32 v69, v0, v25
	v_lshlrev_b32_e32 v0, 1, v39
	v_mul_f16_e32 v67, 0x36a6, v11
	v_mul_f16_e32 v70, 0xb08e, v11
	v_add_f16_e32 v76, v6, v12
	v_add3_u32 v6, 0, v20, v38
	v_add_f16_e32 v66, v7, v41
	v_add3_u32 v7, 0, v0, v38
	v_add_f16_e32 v64, v15, v13
	v_add_f16_e32 v68, v14, v26
	v_fmamk_f16 v77, v40, 0xbb47, v67
	v_fmac_f16_e32 v67, 0x3b47, v40
	v_fmamk_f16 v78, v40, 0x3beb, v70
	v_fmac_f16_e32 v70, 0xbbeb, v40
	global_wb scope:SCOPE_SE
	s_wait_dscnt 0x0
	s_barrier_signal -1
	s_barrier_wait -1
	global_inv scope:SCOPE_SE
	ds_load_u16 v51, v6
	ds_load_u16 v11, v7
	;; [unrolled: 1-line block ×3, first 2 shown]
	ds_load_u16 v12, v37 offset:396
	ds_load_u16 v13, v37 offset:528
	;; [unrolled: 1-line block ×15, first 2 shown]
	v_add_f16_e32 v59, v77, v59
	v_add_f16_e32 v61, v67, v61
	;; [unrolled: 1-line block ×4, first 2 shown]
	global_wb scope:SCOPE_SE
	s_wait_dscnt 0x0
	s_barrier_signal -1
	s_barrier_wait -1
	global_inv scope:SCOPE_SE
	ds_store_b16 v72, v60
	ds_store_b16 v72, v64 offset:12
	ds_store_b16 v72, v66 offset:24
	;; [unrolled: 1-line block ×10, first 2 shown]
	s_and_saveexec_b32 s1, s0
	s_cbranch_execz .LBB0_20
; %bb.19:
	v_add_f16_e32 v59, v17, v49
	v_add_f16_e32 v61, v23, v10
	;; [unrolled: 1-line block ×3, first 2 shown]
	v_sub_f16_e32 v60, v74, v75
	v_sub_f16_e32 v62, v71, v73
	v_add_f16_e32 v23, v59, v23
	v_mul_f16_e32 v66, 0x36a6, v61
	v_mul_f16_e32 v59, 0x3abb, v49
	;; [unrolled: 1-line block ×4, first 2 shown]
	v_add_f16_e32 v23, v23, v5
	v_mul_f16_e32 v65, 0xb93d, v49
	v_mul_f16_e32 v49, 0xbbad, v49
	v_fmamk_f16 v69, v60, 0x3853, v59
	v_fmac_f16_e32 v59, 0xb853, v60
	v_add_f16_e32 v23, v23, v3
	v_mul_f16_e32 v67, 0xb93d, v61
	v_fmamk_f16 v70, v60, 0x3b47, v63
	v_fmac_f16_e32 v63, 0xbb47, v60
	v_fmamk_f16 v71, v60, 0x3beb, v64
	v_add_f16_e32 v23, v23, v1
	v_fmac_f16_e32 v64, 0xbbeb, v60
	v_fmamk_f16 v72, v60, 0x3a0c, v65
	v_fmac_f16_e32 v65, 0xba0c, v60
	v_fmamk_f16 v73, v60, 0x3482, v49
	v_add_f16_e32 v23, v23, v2
	v_fmac_f16_e32 v49, 0xb482, v60
	v_fmamk_f16 v60, v62, 0x3b47, v66
	v_fmac_f16_e32 v66, 0xbb47, v62
	v_add_f16_e32 v59, v17, v59
	v_add_f16_e32 v23, v23, v4
	v_mul_f16_e32 v68, 0xbbad, v61
	v_fmamk_f16 v74, v62, 0x3a0c, v67
	v_add_f16_e32 v63, v17, v63
	v_fmac_f16_e32 v67, 0xba0c, v62
	v_add_f16_e32 v23, v23, v8
	v_add_f16_e32 v5, v5, v8
	;; [unrolled: 1-line block ×3, first 2 shown]
	v_sub_f16_e32 v54, v54, v56
	v_add_f16_e32 v63, v67, v63
	v_add_f16_e32 v10, v23, v10
	;; [unrolled: 1-line block ×4, first 2 shown]
	v_mul_f16_e32 v56, 0xb08e, v5
	v_add_f16_e32 v70, v17, v70
	v_add_f16_e32 v9, v10, v9
	;; [unrolled: 1-line block ×3, first 2 shown]
	v_mul_f16_e32 v66, 0xb08e, v61
	v_mul_f16_e32 v61, 0x3abb, v61
	v_add_f16_e32 v71, v17, v71
	v_add_f16_e32 v64, v17, v64
	;; [unrolled: 1-line block ×3, first 2 shown]
	v_fmamk_f16 v8, v62, 0xbbeb, v66
	v_fmac_f16_e32 v66, 0x3beb, v62
	v_fmamk_f16 v67, v62, 0xb853, v61
	v_add_f16_e32 v17, v17, v49
	v_add_f16_e32 v49, v60, v69
	v_fmamk_f16 v59, v62, 0xb482, v68
	v_fmac_f16_e32 v68, 0x3482, v62
	v_fmac_f16_e32 v61, 0x3853, v62
	v_add_f16_e32 v23, v66, v23
	v_add_f16_e32 v62, v67, v65
	v_fmamk_f16 v65, v54, 0x3beb, v56
	v_mul_f16_e32 v66, 0xbbad, v5
	v_add_f16_e32 v60, v74, v70
	v_add_f16_e32 v17, v61, v17
	v_fmac_f16_e32 v56, 0xbbeb, v54
	v_mul_f16_e32 v61, 0x36a6, v5
	v_add_f16_e32 v49, v65, v49
	v_fmamk_f16 v65, v54, 0xb482, v66
	v_add_f16_e32 v59, v59, v71
	v_add_f16_e32 v64, v68, v64
	;; [unrolled: 1-line block ×3, first 2 shown]
	v_fmamk_f16 v56, v54, 0xbb47, v61
	v_fmac_f16_e32 v61, 0x3b47, v54
	v_add_f16_e32 v60, v65, v60
	v_mul_f16_e32 v65, 0x3abb, v5
	v_add_f16_e32 v3, v3, v4
	v_mul_f16_e32 v4, 0xb93d, v5
	v_add_f16_e32 v8, v8, v72
	v_add_f16_e32 v56, v56, v59
	;; [unrolled: 1-line block ×3, first 2 shown]
	v_fmamk_f16 v5, v54, 0x3853, v65
	v_fmac_f16_e32 v65, 0xb853, v54
	v_sub_f16_e32 v47, v47, v48
	v_mul_f16_e32 v48, 0xb93d, v3
	v_fmamk_f16 v61, v54, 0x3a0c, v4
	v_fmac_f16_e32 v66, 0x3482, v54
	v_add_f16_e32 v5, v5, v8
	v_add_f16_e32 v8, v65, v23
	v_fmac_f16_e32 v4, 0xba0c, v54
	v_fmamk_f16 v23, v47, 0x3a0c, v48
	v_add_f16_e32 v54, v61, v62
	v_mul_f16_e32 v61, 0xb08e, v3
	v_fmac_f16_e32 v48, 0xba0c, v47
	v_add_f16_e32 v63, v66, v63
	v_add_f16_e32 v4, v4, v17
	;; [unrolled: 1-line block ×3, first 2 shown]
	v_fmamk_f16 v49, v47, 0xbbeb, v61
	v_add_f16_e32 v10, v48, v10
	v_fmac_f16_e32 v61, 0x3beb, v47
	v_mul_f16_e32 v48, 0xbbad, v3
	v_mul_f16_e32 v23, 0x3abb, v3
	v_add_f16_e32 v49, v49, v60
	v_mul_f16_e32 v3, 0x36a6, v3
	v_add_f16_e32 v60, v61, v63
	v_fmamk_f16 v61, v47, 0x3482, v48
	v_add_f16_e32 v1, v1, v2
	v_fmac_f16_e32 v48, 0xb482, v47
	v_sub_f16_e32 v44, v44, v45
	v_fmamk_f16 v62, v47, 0x3853, v23
	v_add_f16_e32 v2, v61, v5
	v_fmamk_f16 v5, v47, 0xbb47, v3
	v_mul_f16_e32 v45, 0xbbad, v1
	v_fmac_f16_e32 v3, 0x3b47, v47
	v_fmac_f16_e32 v23, 0xb853, v47
	v_mul_f16_e32 v47, 0x3abb, v1
	v_add_f16_e32 v8, v48, v8
	v_fmamk_f16 v48, v44, 0x3482, v45
	v_add_f16_e32 v3, v3, v4
	v_fmac_f16_e32 v45, 0xb482, v44
	v_mul_f16_e32 v4, 0xb93d, v1
	v_add_f16_e32 v5, v5, v54
	v_fmamk_f16 v54, v44, 0xb853, v47
	v_add_f16_e32 v23, v23, v59
	v_add_f16_e32 v10, v45, v10
	v_fmamk_f16 v45, v44, 0x3a0c, v4
	v_fmac_f16_e32 v4, 0xba0c, v44
	v_add_f16_e32 v17, v48, v17
	v_add_f16_e32 v48, v54, v49
	v_mul_f16_e32 v49, 0x36a6, v1
	v_mul_f16_e32 v1, 0xb08e, v1
	v_add_f16_e32 v4, v4, v23
	v_mad_u32_u24 v23, 0x84, v43, 0
	v_add_f16_e32 v56, v62, v56
	v_fmamk_f16 v43, v44, 0xbb47, v49
	v_fmac_f16_e32 v47, 0x3853, v44
	v_fmac_f16_e32 v49, 0x3b47, v44
	v_fmamk_f16 v54, v44, 0x3beb, v1
	v_fmac_f16_e32 v1, 0xbbeb, v44
	v_add3_u32 v23, v23, v42, v38
	v_add_f16_e32 v45, v45, v56
	v_add_f16_e32 v2, v43, v2
	;; [unrolled: 1-line block ×6, first 2 shown]
	ds_store_b16 v23, v9
	ds_store_b16 v23, v17 offset:12
	ds_store_b16 v23, v48 offset:24
	;; [unrolled: 1-line block ×10, first 2 shown]
.LBB0_20:
	s_wait_alu 0xfffe
	s_or_b32 exec_lo, exec_lo, s1
	v_and_b32_e32 v1, 0xff, v39
	v_dual_mov_b32 v17, 0 :: v_dual_and_b32 v2, 0xffff, v30
	v_and_b32_e32 v3, 0xffff, v31
	v_and_b32_e32 v4, 0xffff, v27
	s_delay_alu instid0(VALU_DEP_4) | instskip(NEXT) | instid1(VALU_DEP_4)
	v_mul_lo_u16 v1, 0xf9, v1
	v_mul_u32_u24_e32 v2, 0xf83f, v2
	v_and_b32_e32 v5, 0xffff, v33
	v_and_b32_e32 v8, 0xffff, v35
	;; [unrolled: 1-line block ×3, first 2 shown]
	v_lshrrev_b16 v1, 14, v1
	v_lshrrev_b32_e32 v2, 22, v2
	v_mul_u32_u24_e32 v4, 0xf83f, v4
	v_mul_u32_u24_e32 v5, 0xf83f, v5
	v_mul_u32_u24_e32 v8, 0xf83f, v8
	v_mul_lo_u16 v1, 0x42, v1
	v_mul_lo_u16 v2, 0x42, v2
	v_mul_u32_u24_e32 v9, 0xf83f, v9
	v_lshrrev_b32_e32 v44, 22, v4
	v_lshrrev_b32_e32 v5, 22, v5
	v_sub_nc_u16 v10, v39, v1
	v_sub_nc_u16 v23, v30, v2
	v_lshlrev_b64_e32 v[1:2], 2, v[16:17]
	v_mul_u32_u24_e32 v39, 0xf83f, v3
	v_lshrrev_b32_e32 v8, 22, v8
	v_lshrrev_b32_e32 v9, 22, v9
	v_mul_lo_u16 v44, 0x42, v44
	global_wb scope:SCOPE_SE
	s_wait_dscnt 0x0
	v_add_co_u32 v1, s0, s4, v1
	v_lshrrev_b32_e32 v43, 22, v39
	s_wait_alu 0xf1ff
	v_add_co_ci_u32_e64 v2, s0, s5, v2, s0
	s_barrier_signal -1
	s_barrier_wait -1
	v_mul_lo_u16 v43, 0x42, v43
	global_inv scope:SCOPE_SE
	global_load_b32 v1, v[1:2], off offset:240
	v_mul_lo_u16 v2, 0x42, v5
	v_mul_lo_u16 v5, 0x42, v8
	;; [unrolled: 1-line block ×3, first 2 shown]
	v_sub_nc_u16 v9, v31, v43
	v_sub_nc_u16 v43, v27, v44
	;; [unrolled: 1-line block ×5, first 2 shown]
	v_and_b32_e32 v10, 0xff, v10
	v_and_b32_e32 v42, 0xffff, v23
	;; [unrolled: 1-line block ×7, first 2 shown]
	v_lshlrev_b32_e32 v3, 2, v10
	v_lshlrev_b32_e32 v23, 2, v42
	;; [unrolled: 1-line block ×7, first 2 shown]
	s_clause 0x6
	global_load_b32 v49, v3, s[4:5] offset:240
	global_load_b32 v54, v23, s[4:5] offset:240
	;; [unrolled: 1-line block ×7, first 2 shown]
	v_mov_b32_e32 v21, v17
	ds_load_u16 v61, v6
	ds_load_u16 v62, v7
	;; [unrolled: 1-line block ×3, first 2 shown]
	ds_load_u16 v64, v37 offset:396
	ds_load_u16 v65, v37 offset:528
	;; [unrolled: 1-line block ×7, first 2 shown]
	v_dual_mov_b32 v23, v17 :: v_dual_lshlrev_b32 v10, 1, v10
	v_lshlrev_b32_e32 v9, 1, v9
	v_lshlrev_b32_e32 v8, 1, v8
	s_delay_alu instid0(VALU_DEP_3)
	v_lshlrev_b64_e32 v[2:3], 2, v[22:23]
	v_lshrrev_b32_e32 v22, 23, v39
	ds_load_u16 v39, v37 offset:1320
	ds_load_u16 v71, v37 offset:1452
	;; [unrolled: 1-line block ×8, first 2 shown]
	v_lshrrev_b32_e32 v23, 23, v4
	v_lshlrev_b64_e32 v[4:5], 2, v[20:21]
	v_add3_u32 v10, 0, v10, v38
	v_mul_lo_u16 v20, 0x84, v22
	v_add_co_u32 v2, s0, s4, v2
	v_mul_lo_u16 v21, 0x84, v23
	v_lshlrev_b32_e32 v23, 1, v43
	v_lshlrev_b32_e32 v43, 1, v45
	v_sub_nc_u16 v20, v31, v20
	s_wait_alu 0xf1ff
	v_add_co_ci_u32_e64 v3, s0, s5, v3, s0
	v_sub_nc_u16 v21, v27, v21
	v_lshlrev_b32_e32 v22, 1, v42
	v_and_b32_e32 v20, 0xffff, v20
	v_lshlrev_b32_e32 v42, 1, v44
	v_add_co_u32 v4, s0, s4, v4
	v_and_b32_e32 v21, 0xffff, v21
	s_wait_alu 0xf1ff
	v_add_co_ci_u32_e64 v5, s0, s5, v5, s0
	v_lshlrev_b32_e32 v44, 3, v20
	v_add3_u32 v9, 0, v9, v38
	v_add3_u32 v8, 0, v8, v38
	global_wb scope:SCOPE_SE
	s_wait_loadcnt_dscnt 0x0
	s_barrier_signal -1
	s_barrier_wait -1
	global_inv scope:SCOPE_SE
	v_add3_u32 v22, 0, v22, v38
	v_add3_u32 v23, 0, v23, v38
	;; [unrolled: 1-line block ×4, first 2 shown]
	v_lshrrev_b32_e32 v45, 16, v1
	s_delay_alu instid0(VALU_DEP_1) | instskip(SKIP_3) | instid1(VALU_DEP_4)
	v_mul_f16_e32 v78, v69, v45
	v_mul_f16_e32 v79, v57, v45
	;; [unrolled: 1-line block ×4, first 2 shown]
	v_fmac_f16_e32 v78, v57, v1
	s_delay_alu instid0(VALU_DEP_4) | instskip(NEXT) | instid1(VALU_DEP_4)
	v_fma_f16 v57, v69, v1, -v79
	v_fmac_f16_e32 v80, v58, v1
	s_delay_alu instid0(VALU_DEP_4) | instskip(NEXT) | instid1(VALU_DEP_4)
	v_fma_f16 v1, v39, v1, -v45
	v_sub_f16_e32 v39, v55, v78
	s_delay_alu instid0(VALU_DEP_4)
	v_sub_f16_e32 v45, v63, v57
	v_lshrrev_b32_e32 v58, 16, v49
	v_sub_f16_e32 v57, v51, v80
	v_lshrrev_b32_e32 v69, 16, v54
	v_lshrrev_b32_e32 v78, 16, v56
	;; [unrolled: 1-line block ×6, first 2 shown]
	v_mul_f16_e32 v83, v71, v58
	v_mul_f16_e32 v58, v53, v58
	;; [unrolled: 1-line block ×14, first 2 shown]
	v_fmac_f16_e32 v83, v53, v49
	v_fma_f16 v49, v71, v49, -v58
	v_fmac_f16_e32 v88, v40, v47
	v_fmac_f16_e32 v89, v26, v48
	;; [unrolled: 1-line block ×3, first 2 shown]
	v_fma_f16 v52, v72, v54, -v69
	v_fmac_f16_e32 v85, v50, v56
	v_fma_f16 v50, v73, v56, -v78
	v_fmac_f16_e32 v86, v46, v59
	;; [unrolled: 2-line block ×3, first 2 shown]
	v_fma_f16 v41, v75, v60, -v80
	v_fma_f16 v40, v76, v47, -v81
	;; [unrolled: 1-line block ×3, first 2 shown]
	v_sub_f16_e32 v1, v61, v1
	v_sub_f16_e32 v47, v11, v83
	;; [unrolled: 1-line block ×5, first 2 shown]
	v_fma_f16 v55, v55, 2.0, -v39
	v_fma_f16 v63, v63, 2.0, -v45
	v_sub_f16_e32 v49, v12, v84
	v_sub_f16_e32 v52, v64, v52
	;; [unrolled: 1-line block ×10, first 2 shown]
	v_fma_f16 v51, v51, 2.0, -v57
	v_fma_f16 v61, v61, 2.0, -v1
	;; [unrolled: 1-line block ×16, first 2 shown]
	ds_store_b16 v37, v55
	ds_store_b16 v37, v39 offset:132
	ds_store_b16 v37, v51 offset:264
	;; [unrolled: 1-line block ×17, first 2 shown]
	global_wb scope:SCOPE_SE
	s_wait_dscnt 0x0
	s_barrier_signal -1
	s_barrier_wait -1
	global_inv scope:SCOPE_SE
	ds_load_u16 v24, v6
	ds_load_u16 v25, v7
	ds_load_u16 v39, v37 offset:924
	ds_load_u16 v47, v37 offset:1056
	;; [unrolled: 1-line block ×3, first 2 shown]
	ds_load_u16 v51, v36
	ds_load_u16 v53, v37 offset:396
	ds_load_u16 v54, v37 offset:528
	;; [unrolled: 1-line block ×12, first 2 shown]
	global_wb scope:SCOPE_SE
	s_wait_dscnt 0x0
	s_barrier_signal -1
	s_barrier_wait -1
	global_inv scope:SCOPE_SE
	ds_store_b16 v37, v63
	ds_store_b16 v37, v45 offset:132
	ds_store_b16 v37, v61 offset:264
	;; [unrolled: 1-line block ×17, first 2 shown]
	global_wb scope:SCOPE_SE
	s_wait_dscnt 0x0
	s_barrier_signal -1
	s_barrier_wait -1
	global_inv scope:SCOPE_SE
	global_load_b64 v[8:9], v[2:3], off offset:504
	v_lshlrev_b32_e32 v1, 3, v21
	s_clause 0x2
	global_load_b64 v[10:11], v[4:5], off offset:504
	global_load_b64 v[12:13], v44, s[4:5] offset:504
	global_load_b64 v[14:15], v1, s[4:5] offset:504
	v_lshlrev_b32_e32 v1, 1, v20
	v_lshlrev_b32_e32 v20, 1, v21
	s_delay_alu instid0(VALU_DEP_2) | instskip(NEXT) | instid1(VALU_DEP_2)
	v_add3_u32 v1, 0, v1, v38
	v_add3_u32 v41, 0, v20, v38
	ds_load_u16 v42, v6
	ds_load_u16 v43, v7
	ds_load_u16 v20, v37 offset:924
	ds_load_u16 v21, v37 offset:1056
	;; [unrolled: 1-line block ×3, first 2 shown]
	ds_load_u16 v44, v36
	ds_load_u16 v45, v37 offset:396
	ds_load_u16 v46, v37 offset:528
	ds_load_u16 v23, v37 offset:1320
	ds_load_u16 v26, v37 offset:792
	ds_load_u16 v48, v37 offset:660
	ds_load_u16 v38, v37 offset:1584
	ds_load_u16 v40, v37 offset:1716
	ds_load_u16 v50, v37 offset:1848
	ds_load_u16 v52, v37 offset:1980
	ds_load_u16 v60, v37 offset:2112
	ds_load_u16 v61, v37 offset:2244
	ds_load_u16 v62, v37 offset:1452
	global_wb scope:SCOPE_SE
	s_wait_loadcnt_dscnt 0x0
	s_barrier_signal -1
	s_barrier_wait -1
	global_inv scope:SCOPE_SE
	v_lshrrev_b32_e32 v63, 16, v8
	v_lshrrev_b32_e32 v64, 16, v9
	v_lshrrev_b32_e32 v65, 16, v10
	v_lshrrev_b32_e32 v66, 16, v11
	v_lshrrev_b32_e32 v67, 16, v12
	v_lshrrev_b32_e32 v68, 16, v13
	v_lshrrev_b32_e32 v74, 16, v14
	v_lshrrev_b32_e32 v75, 16, v15
	v_mul_f16_e32 v76, v26, v63
	v_mul_f16_e32 v78, v38, v64
	v_mul_f16_e32 v80, v20, v65
	v_mul_f16_e32 v82, v40, v66
	v_mul_f16_e32 v84, v21, v63
	v_mul_f16_e32 v85, v50, v64
	v_mul_f16_e32 v86, v22, v65
	v_mul_f16_e32 v87, v52, v66
	v_mul_f16_e32 v88, v23, v67
	v_mul_f16_e32 v89, v60, v68
	v_mul_f16_e32 v90, v62, v74
	v_mul_f16_e32 v91, v61, v75
	v_mul_f16_e32 v77, v56, v63
	v_mul_f16_e32 v79, v72, v64
	v_mul_f16_e32 v81, v39, v65
	v_mul_f16_e32 v65, v49, v65
	v_fmac_f16_e32 v76, v56, v8
	v_fmac_f16_e32 v78, v72, v9
	v_mul_f16_e32 v83, v58, v66
	v_mul_f16_e32 v63, v47, v63
	;; [unrolled: 1-line block ×8, first 2 shown]
	v_fmac_f16_e32 v80, v39, v10
	v_fmac_f16_e32 v82, v58, v11
	;; [unrolled: 1-line block ×10, first 2 shown]
	v_fma_f16 v26, v26, v8, -v77
	v_fma_f16 v38, v38, v9, -v79
	v_fma_f16 v20, v20, v10, -v81
	v_fma_f16 v10, v22, v10, -v65
	v_add_f16_e32 v22, v76, v78
	v_fma_f16 v39, v40, v11, -v83
	v_fma_f16 v8, v21, v8, -v63
	;; [unrolled: 1-line block ×8, first 2 shown]
	v_add_f16_e32 v50, v80, v82
	v_add_f16_e32 v59, v84, v85
	;; [unrolled: 1-line block ×6, first 2 shown]
	v_sub_f16_e32 v23, v26, v38
	v_add_f16_e32 v49, v24, v80
	v_add_f16_e32 v55, v42, v20
	;; [unrolled: 1-line block ×3, first 2 shown]
	v_fmac_f16_e32 v51, -0.5, v22
	v_sub_f16_e32 v47, v76, v78
	v_sub_f16_e32 v52, v20, v39
	v_add_f16_e32 v20, v20, v39
	v_add_f16_e32 v58, v25, v84
	v_sub_f16_e32 v60, v8, v9
	v_add_f16_e32 v61, v43, v8
	v_add_f16_e32 v8, v8, v9
	;; [unrolled: 1-line block ×3, first 2 shown]
	v_sub_f16_e32 v65, v10, v11
	v_add_f16_e32 v10, v10, v11
	v_add_f16_e32 v68, v54, v88
	v_sub_f16_e32 v70, v12, v13
	v_add_f16_e32 v71, v46, v12
	v_add_f16_e32 v12, v12, v13
	;; [unrolled: 1-line block ×3, first 2 shown]
	v_sub_f16_e32 v75, v14, v15
	v_add_f16_e32 v76, v48, v14
	v_add_f16_e32 v14, v14, v15
	v_fmac_f16_e32 v24, -0.5, v50
	v_fmac_f16_e32 v25, -0.5, v59
	;; [unrolled: 1-line block ×5, first 2 shown]
	v_add_f16_e32 v40, v44, v26
	v_add_f16_e32 v26, v26, v38
	;; [unrolled: 1-line block ×6, first 2 shown]
	v_fmamk_f16 v11, v23, 0xbaee, v51
	v_fmac_f16_e32 v51, 0x3aee, v23
	v_fmac_f16_e32 v42, -0.5, v20
	v_add_f16_e32 v20, v58, v85
	v_add_f16_e32 v50, v61, v9
	v_fmac_f16_e32 v43, -0.5, v8
	v_add_f16_e32 v8, v63, v87
	v_fmac_f16_e32 v45, -0.5, v10
	v_add_f16_e32 v9, v68, v89
	v_add_f16_e32 v58, v71, v13
	v_fmac_f16_e32 v46, -0.5, v12
	v_add_f16_e32 v10, v73, v91
	v_add_f16_e32 v59, v76, v15
	v_fmac_f16_e32 v48, -0.5, v14
	v_fmamk_f16 v12, v52, 0xbaee, v24
	v_fmac_f16_e32 v24, 0x3aee, v52
	v_fmamk_f16 v13, v60, 0xbaee, v25
	v_fmac_f16_e32 v25, 0x3aee, v60
	v_fmamk_f16 v14, v65, 0xbaee, v53
	v_fmamk_f16 v15, v70, 0xbaee, v54
	;; [unrolled: 1-line block ×3, first 2 shown]
	v_add_f16_e32 v78, v40, v38
	v_fmac_f16_e32 v44, -0.5, v26
	v_fmac_f16_e32 v53, 0x3aee, v65
	v_fmac_f16_e32 v54, 0x3aee, v70
	;; [unrolled: 1-line block ×3, first 2 shown]
	ds_store_b16 v37, v21
	ds_store_b16 v37, v11 offset:264
	ds_store_b16 v37, v51 offset:528
	ds_store_b16 v6, v22
	ds_store_b16 v6, v12 offset:264
	ds_store_b16 v6, v24 offset:528
	;; [unrolled: 1-line block ×14, first 2 shown]
	global_wb scope:SCOPE_SE
	s_wait_dscnt 0x0
	s_barrier_signal -1
	s_barrier_wait -1
	global_inv scope:SCOPE_SE
	ds_load_u16 v8, v6
	ds_load_u16 v10, v7
	ds_load_u16 v14, v37 offset:924
	ds_load_u16 v15, v37 offset:1056
	;; [unrolled: 1-line block ×3, first 2 shown]
	ds_load_u16 v9, v36
	ds_load_u16 v11, v37 offset:396
	ds_load_u16 v12, v37 offset:528
	;; [unrolled: 1-line block ×12, first 2 shown]
	v_sub_f16_e32 v56, v80, v82
	v_sub_f16_e32 v62, v84, v85
	;; [unrolled: 1-line block ×5, first 2 shown]
	v_fmamk_f16 v61, v47, 0x3aee, v44
	v_fmac_f16_e32 v44, 0xbaee, v47
	v_fmamk_f16 v47, v56, 0x3aee, v42
	v_fmac_f16_e32 v42, 0xbaee, v56
	v_fmamk_f16 v52, v62, 0x3aee, v43
	v_fmac_f16_e32 v43, 0xbaee, v62
	v_fmamk_f16 v56, v67, 0x3aee, v45
	v_fmac_f16_e32 v45, 0xbaee, v67
	v_fmamk_f16 v60, v72, 0x3aee, v46
	v_fmac_f16_e32 v46, 0xbaee, v72
	v_fmamk_f16 v62, v77, 0x3aee, v48
	v_fmac_f16_e32 v48, 0xbaee, v77
	global_wb scope:SCOPE_SE
	s_wait_dscnt 0x0
	s_barrier_signal -1
	s_barrier_wait -1
	global_inv scope:SCOPE_SE
	ds_store_b16 v37, v78
	ds_store_b16 v37, v61 offset:264
	ds_store_b16 v37, v44 offset:528
	ds_store_b16 v6, v49
	ds_store_b16 v6, v47 offset:264
	ds_store_b16 v6, v42 offset:528
	;; [unrolled: 1-line block ×14, first 2 shown]
	global_wb scope:SCOPE_SE
	s_wait_dscnt 0x0
	s_barrier_signal -1
	s_barrier_wait -1
	global_inv scope:SCOPE_SE
	s_and_saveexec_b32 s0, vcc_lo
	s_cbranch_execz .LBB0_22
; %bb.21:
	v_dual_mov_b32 v42, v17 :: v_dual_lshlrev_b32 v41, 1, v27
	v_dual_mov_b32 v44, v17 :: v_dual_lshlrev_b32 v43, 1, v31
	;; [unrolled: 1-line block ×3, first 2 shown]
	s_delay_alu instid0(VALU_DEP_3) | instskip(SKIP_1) | instid1(VALU_DEP_4)
	v_lshlrev_b64_e32 v[41:42], 2, v[41:42]
	v_mad_co_u64_u32 v[51:52], null, s8, v35, 0
	v_lshlrev_b64_e32 v[43:44], 2, v[43:44]
	v_mov_b32_e32 v1, v17
	v_lshlrev_b64_e32 v[45:46], 2, v[45:46]
	v_add_co_u32 v41, vcc_lo, s4, v41
	s_wait_alu 0xfffd
	v_add_co_ci_u32_e32 v42, vcc_lo, s5, v42, vcc_lo
	v_add_co_u32 v43, vcc_lo, s4, v43
	v_lshlrev_b64_e32 v[0:1], 2, v[0:1]
	s_wait_alu 0xfffd
	v_add_co_ci_u32_e32 v44, vcc_lo, s5, v44, vcc_lo
	v_add_co_u32 v45, vcc_lo, s4, v45
	s_wait_alu 0xfffd
	v_add_co_ci_u32_e32 v46, vcc_lo, s5, v46, vcc_lo
	v_add_co_u32 v0, vcc_lo, s4, v0
	s_wait_alu 0xfffd
	v_add_co_ci_u32_e32 v1, vcc_lo, s5, v1, vcc_lo
	s_clause 0x5
	global_load_b64 v[41:42], v[41:42], off offset:1560
	global_load_b64 v[43:44], v[43:44], off offset:1560
	;; [unrolled: 1-line block ×6, first 2 shown]
	v_mul_hi_u32 v55, 0xa57eb503, v29
	ds_load_u16 v70, v37 offset:2244
	ds_load_u16 v71, v37 offset:2112
	;; [unrolled: 1-line block ×8, first 2 shown]
	ds_load_u16 v78, v7
	ds_load_u16 v79, v6
	ds_load_u16 v80, v37 offset:1188
	ds_load_u16 v81, v37 offset:1056
	;; [unrolled: 1-line block ×7, first 2 shown]
	ds_load_u16 v87, v36
	v_mad_co_u64_u32 v[36:37], null, s8, v34, 0
	v_mul_hi_u32 v56, 0xa57eb503, v30
	v_mad_co_u64_u32 v[6:7], null, s8, v16, 0
	v_mad_co_u64_u32 v[49:50], null, s8, v28, 0
	;; [unrolled: 1-line block ×3, first 2 shown]
	v_add_co_u32 v0, vcc_lo, s10, v18
	v_mad_co_u64_u32 v[17:18], null, s8, v33, 0
	v_lshrrev_b32_e32 v58, 8, v55
	s_wait_alu 0xfffd
	v_add_co_ci_u32_e32 v1, vcc_lo, s11, v19, vcc_lo
	v_mov_b32_e32 v19, v37
	v_lshrrev_b32_e32 v59, 8, v56
	v_mul_hi_u32 v57, 0xa57eb503, v31
	v_mad_u32_u24 v63, 0x318, v58, v29
	v_dual_mov_b32 v37, v50 :: v_dual_mov_b32 v50, v52
	v_mov_b32_e32 v52, v54
	v_mad_co_u64_u32 v[54:55], null, s9, v16, v[7:8]
	s_delay_alu instid0(VALU_DEP_4) | instskip(SKIP_4) | instid1(VALU_DEP_3)
	v_add_nc_u32_e32 v66, 0x18c, v63
	v_mad_co_u64_u32 v[55:56], null, s9, v33, v[18:19]
	v_mad_u32_u24 v64, 0x318, v59, v30
	v_mad_co_u64_u32 v[33:34], null, s9, v34, v[19:20]
	v_lshrrev_b32_e32 v60, 8, v57
	v_dual_mov_b32 v7, v54 :: v_dual_add_nc_u32 v68, 0x18c, v64
	v_mad_co_u64_u32 v[56:57], null, s9, v28, v[37:38]
	v_mad_co_u64_u32 v[34:35], null, s9, v35, v[50:51]
	v_dual_mov_b32 v18, v55 :: v_dual_add_nc_u32 v67, 0x318, v63
	v_mad_co_u64_u32 v[28:29], null, s9, v32, v[52:53]
	v_mad_u32_u24 v89, 0x318, v60, v31
	v_lshlrev_b64_e32 v[6:7], 2, v[6:7]
	v_mad_co_u64_u32 v[29:30], null, s8, v63, 0
	v_dual_mov_b32 v50, v56 :: v_dual_add_nc_u32 v69, 0x318, v64
	v_dual_mov_b32 v37, v33 :: v_dual_mov_b32 v52, v34
	v_mad_co_u64_u32 v[31:32], null, s8, v64, 0
	v_lshlrev_b64_e32 v[16:17], 2, v[17:18]
	v_mad_co_u64_u32 v[57:58], null, s8, v89, 0
	v_mad_co_u64_u32 v[33:34], null, s8, v66, 0
	v_mad_co_u64_u32 v[61:62], null, s8, v69, 0
	v_lshlrev_b64_e32 v[18:19], 2, v[36:37]
	v_add_co_u32 v6, vcc_lo, v0, v6
	v_mad_co_u64_u32 v[55:56], null, s8, v67, 0
	v_mad_co_u64_u32 v[59:60], null, s8, v68, 0
	s_wait_alu 0xfffd
	v_add_co_ci_u32_e32 v7, vcc_lo, v1, v7, vcc_lo
	v_dual_mov_b32 v54, v28 :: v_dual_mov_b32 v37, v62
	v_lshlrev_b64_e32 v[35:36], 2, v[49:50]
	v_mov_b32_e32 v28, v30
	v_add_co_u32 v16, vcc_lo, v0, v16
	v_mov_b32_e32 v30, v32
	s_wait_alu 0xfffd
	v_add_co_ci_u32_e32 v17, vcc_lo, v1, v17, vcc_lo
	v_add_co_u32 v18, vcc_lo, v0, v18
	v_mov_b32_e32 v32, v58
	v_lshlrev_b64_e32 v[49:50], 2, v[51:52]
	v_lshlrev_b64_e32 v[51:52], 2, v[53:54]
	v_mad_co_u64_u32 v[53:54], null, s9, v63, v[28:29]
	v_mov_b32_e32 v28, v34
	s_wait_alu 0xfffd
	v_add_co_ci_u32_e32 v19, vcc_lo, v1, v19, vcc_lo
	v_mov_b32_e32 v34, v56
	v_add_co_u32 v35, vcc_lo, v0, v35
	v_mad_co_u64_u32 v[63:64], null, s9, v64, v[30:31]
	v_mov_b32_e32 v30, v60
	v_mad_co_u64_u32 v[64:65], null, s9, v89, v[32:33]
	v_mad_co_u64_u32 v[65:66], null, s9, v66, v[28:29]
	;; [unrolled: 1-line block ×3, first 2 shown]
	s_delay_alu instid0(VALU_DEP_4)
	v_mad_co_u64_u32 v[67:68], null, s9, v68, v[30:31]
	v_mad_co_u64_u32 v[68:69], null, s9, v69, v[37:38]
	v_mov_b32_e32 v30, v53
	v_mov_b32_e32 v32, v63
	;; [unrolled: 1-line block ×5, first 2 shown]
	v_lshlrev_b64_e32 v[28:29], 2, v[29:30]
	v_mov_b32_e32 v62, v68
	v_lshlrev_b64_e32 v[30:31], 2, v[31:32]
	v_lshlrev_b64_e32 v[32:33], 2, v[33:34]
	;; [unrolled: 1-line block ×5, first 2 shown]
	v_mov_b32_e32 v58, v64
	s_wait_alu 0xfffd
	v_add_co_ci_u32_e32 v36, vcc_lo, v1, v36, vcc_lo
	v_add_co_u32 v49, vcc_lo, v0, v49
	s_wait_alu 0xfffd
	v_add_co_ci_u32_e32 v50, vcc_lo, v1, v50, vcc_lo
	v_add_co_u32 v51, vcc_lo, v0, v51
	;; [unrolled: 3-line block ×5, first 2 shown]
	s_wait_alu 0xfffd
	v_add_co_ci_u32_e32 v33, vcc_lo, v1, v33, vcc_lo
	v_mul_hi_u32 v88, 0xa57eb503, v27
	v_add_co_u32 v53, vcc_lo, v0, v53
	s_wait_alu 0xfffd
	v_add_co_ci_u32_e32 v54, vcc_lo, v1, v54, vcc_lo
	v_add_co_u32 v55, vcc_lo, v0, v55
	s_wait_alu 0xfffd
	v_add_co_ci_u32_e32 v56, vcc_lo, v1, v56, vcc_lo
	;; [unrolled: 3-line block ×3, first 2 shown]
	s_wait_loadcnt 0x4
	v_lshrrev_b32_e32 v61, 16, v43
	v_lshrrev_b32_e32 v62, 16, v44
	s_wait_loadcnt 0x2
	v_lshrrev_b32_e32 v65, 16, v47
	v_lshrrev_b32_e32 v34, 16, v41
	;; [unrolled: 1-line block ×4, first 2 shown]
	s_wait_loadcnt 0x1
	v_lshrrev_b32_e32 v67, 16, v4
	v_lshrrev_b32_e32 v68, 16, v5
	s_wait_loadcnt 0x0
	v_lshrrev_b32_e32 v69, 16, v2
	v_lshrrev_b32_e32 v90, 16, v3
	;; [unrolled: 1-line block ×4, first 2 shown]
	v_mul_f16_e32 v91, v40, v34
	v_mul_f16_e32 v92, v39, v37
	s_wait_dscnt 0xb
	v_mul_f16_e32 v34, v76, v34
	v_mul_f16_e32 v37, v70, v37
	v_mul_f16_e32 v93, v25, v61
	v_mul_f16_e32 v94, v38, v62
	s_wait_dscnt 0xa
	v_mul_f16_e32 v61, v77, v61
	v_mul_f16_e32 v62, v71, v62
	;; [unrolled: 5-line block ×5, first 2 shown]
	v_mul_f16_e32 v95, v22, v63
	v_mul_f16_e32 v96, v26, v64
	;; [unrolled: 1-line block ×4, first 2 shown]
	v_fmac_f16_e32 v34, v40, v41
	v_fmac_f16_e32 v37, v39, v42
	v_fma_f16 v39, v77, v43, -v93
	v_fma_f16 v40, v71, v44, -v94
	v_fmac_f16_e32 v61, v25, v43
	v_fmac_f16_e32 v62, v38, v44
	v_fmac_f16_e32 v65, v15, v47
	v_fmac_f16_e32 v66, v24, v48
	v_fma_f16 v15, v82, v4, -v99
	v_fma_f16 v24, v74, v5, -v100
	v_fmac_f16_e32 v67, v14, v4
	v_fmac_f16_e32 v68, v21, v5
	v_fma_f16 v4, v83, v2, -v101
	v_fma_f16 v5, v75, v3, -v102
	v_fmac_f16_e32 v69, v20, v2
	v_fmac_f16_e32 v90, v23, v3
	;; [unrolled: 4-line block ×3, first 2 shown]
	v_fma_f16 v25, v80, v45, -v95
	v_fma_f16 v38, v72, v46, -v96
	;; [unrolled: 1-line block ×4, first 2 shown]
	v_sub_f16_e32 v3, v34, v37
	v_add_f16_e32 v14, v34, v37
	v_add_f16_e32 v23, v13, v34
	;; [unrolled: 1-line block ×4, first 2 shown]
	v_sub_f16_e32 v43, v39, v40
	s_wait_dscnt 0x2
	v_add_f16_e32 v39, v85, v39
	v_add_f16_e32 v80, v4, v5
	v_sub_f16_e32 v81, v69, v90
	v_add_f16_e32 v82, v69, v90
	v_sub_f16_e32 v83, v4, v5
	s_wait_dscnt 0x0
	v_add_f16_e32 v4, v87, v4
	v_add_f16_e32 v69, v9, v69
	;; [unrolled: 1-line block ×3, first 2 shown]
	v_sub_f16_e32 v20, v76, v70
	v_add_f16_e32 v21, v84, v76
	v_add_f16_e32 v47, v63, v64
	;; [unrolled: 1-line block ×4, first 2 shown]
	v_sub_f16_e32 v41, v61, v62
	v_add_f16_e32 v44, v12, v61
	v_add_f16_e32 v45, v25, v38
	v_sub_f16_e32 v46, v63, v64
	v_sub_f16_e32 v48, v25, v38
	v_add_f16_e32 v25, v86, v25
	v_add_f16_e32 v61, v11, v63
	;; [unrolled: 1-line block ×4, first 2 shown]
	v_fma_f16 v91, -0.5, v14, v13
	v_fma_f16 v14, -0.5, v34, v85
	;; [unrolled: 1-line block ×3, first 2 shown]
	v_add_f16_e32 v12, v39, v40
	v_fma_f16 v40, -0.5, v80, v87
	v_fma_f16 v9, -0.5, v82, v9
	v_add_f16_e32 v4, v4, v5
	v_add_f16_e32 v5, v69, v90
	v_sub_f16_e32 v75, v67, v68
	v_sub_f16_e32 v77, v15, v24
	v_add_f16_e32 v15, v79, v15
	v_add_f16_e32 v67, v8, v67
	v_fma_f16 v11, -0.5, v47, v11
	v_fma_f16 v39, -0.5, v74, v79
	;; [unrolled: 1-line block ×3, first 2 shown]
	v_sub_f16_e32 v71, v65, v66
	v_sub_f16_e32 v73, v22, v26
	v_add_f16_e32 v22, v78, v22
	v_add_f16_e32 v65, v10, v65
	v_fma_f16 v84, -0.5, v2, v84
	v_add_f16_e32 v23, v23, v37
	v_add_f16_e32 v13, v44, v62
	v_fma_f16 v2, -0.5, v45, v86
	;; [unrolled: 3-line block ×3, first 2 shown]
	v_fma_f16 v10, -0.5, v72, v10
	v_fmamk_f16 v61, v81, 0xbaee, v40
	v_fmamk_f16 v62, v83, 0x3aee, v9
	v_fmac_f16_e32 v40, 0x3aee, v81
	v_pack_b32_f16 v4, v5, v4
	v_fmac_f16_e32 v9, 0xbaee, v83
	v_add_f16_e32 v15, v15, v24
	v_add_f16_e32 v24, v67, v68
	v_fmamk_f16 v44, v20, 0x3aee, v91
	v_fmac_f16_e32 v91, 0xbaee, v20
	v_fmamk_f16 v20, v41, 0xbaee, v14
	v_fmac_f16_e32 v14, 0x3aee, v41
	;; [unrolled: 2-line block ×3, first 2 shown]
	v_fmamk_f16 v47, v75, 0xbaee, v39
	v_fmamk_f16 v48, v77, 0x3aee, v8
	v_fmac_f16_e32 v39, 0x3aee, v75
	v_fmac_f16_e32 v8, 0xbaee, v77
	v_add_f16_e32 v22, v22, v26
	v_add_f16_e32 v26, v65, v66
	v_fmamk_f16 v42, v3, 0xbaee, v84
	v_fmac_f16_e32 v84, 0x3aee, v3
	v_fmamk_f16 v45, v43, 0x3aee, v34
	v_fmac_f16_e32 v34, 0xbaee, v43
	;; [unrolled: 2-line block ×3, first 2 shown]
	v_fmamk_f16 v43, v71, 0xbaee, v38
	v_fmamk_f16 v46, v73, 0x3aee, v10
	v_fmac_f16_e32 v38, 0x3aee, v71
	v_fmac_f16_e32 v10, 0xbaee, v73
	global_store_b32 v[6:7], v4, off
	v_pack_b32_f16 v4, v9, v40
	v_pack_b32_f16 v6, v62, v61
	;; [unrolled: 1-line block ×11, first 2 shown]
	s_clause 0xa
	global_store_b32 v[16:17], v4, off
	global_store_b32 v[18:19], v6, off
	global_store_b32 v[35:36], v5, off
	global_store_b32 v[49:50], v7, off
	global_store_b32 v[51:52], v8, off
	global_store_b32 v[28:29], v15, off
	global_store_b32 v[32:33], v9, off
	global_store_b32 v[53:54], v10, off
	global_store_b32 v[30:31], v22, off
	global_store_b32 v[55:56], v2, off
	global_store_b32 v[59:60], v3, off
	v_lshrrev_b32_e32 v8, 8, v88
	v_add_nc_u32_e32 v10, 0x18c, v89
	v_add_nc_u32_e32 v15, 0x318, v89
	v_lshlrev_b64_e32 v[2:3], 2, v[57:58]
	v_pack_b32_f16 v17, v13, v12
	v_mad_u32_u24 v16, 0x318, v8, v27
	v_mad_co_u64_u32 v[4:5], null, s8, v10, 0
	v_mad_co_u64_u32 v[6:7], null, s8, v15, 0
	s_delay_alu instid0(VALU_DEP_3)
	v_mad_co_u64_u32 v[8:9], null, s8, v16, 0
	v_add_nc_u32_e32 v18, 0x18c, v16
	v_add_co_u32 v2, vcc_lo, v0, v2
	s_wait_alu 0xfffd
	v_add_co_ci_u32_e32 v3, vcc_lo, v1, v3, vcc_lo
	v_mad_co_u64_u32 v[10:11], null, s9, v10, v[5:6]
	v_mad_co_u64_u32 v[11:12], null, s9, v15, v[7:8]
	v_mov_b32_e32 v7, v9
	v_mad_co_u64_u32 v[12:13], null, s8, v18, 0
	v_add_nc_u32_e32 v15, 0x318, v16
	v_mov_b32_e32 v5, v10
	s_delay_alu instid0(VALU_DEP_4) | instskip(SKIP_1) | instid1(VALU_DEP_4)
	v_mad_co_u64_u32 v[9:10], null, s9, v16, v[7:8]
	v_mov_b32_e32 v7, v11
	v_mad_co_u64_u32 v[10:11], null, s8, v15, 0
	global_store_b32 v[2:3], v17, off
	v_lshlrev_b64_e32 v[2:3], 2, v[4:5]
	v_mov_b32_e32 v4, v13
	v_lshlrev_b64_e32 v[6:7], 2, v[6:7]
	v_pack_b32_f16 v16, v34, v14
	v_lshlrev_b64_e32 v[8:9], 2, v[8:9]
	v_add_f16_e32 v21, v21, v70
	v_mad_co_u64_u32 v[4:5], null, s9, v18, v[4:5]
	v_mov_b32_e32 v5, v11
	v_add_co_u32 v2, vcc_lo, v0, v2
	s_wait_alu 0xfffd
	v_add_co_ci_u32_e32 v3, vcc_lo, v1, v3, vcc_lo
	s_delay_alu instid0(VALU_DEP_3) | instskip(SKIP_4) | instid1(VALU_DEP_3)
	v_mad_co_u64_u32 v[14:15], null, s9, v15, v[5:6]
	v_mov_b32_e32 v13, v4
	v_add_co_u32 v4, vcc_lo, v0, v6
	s_wait_alu 0xfffd
	v_add_co_ci_u32_e32 v5, vcc_lo, v1, v7, vcc_lo
	v_lshlrev_b64_e32 v[6:7], 2, v[12:13]
	v_mov_b32_e32 v11, v14
	v_add_co_u32 v8, vcc_lo, v0, v8
	s_wait_alu 0xfffd
	v_add_co_ci_u32_e32 v9, vcc_lo, v1, v9, vcc_lo
	s_delay_alu instid0(VALU_DEP_3)
	v_lshlrev_b64_e32 v[10:11], 2, v[10:11]
	v_add_co_u32 v6, vcc_lo, v0, v6
	v_pack_b32_f16 v15, v45, v20
	s_wait_alu 0xfffd
	v_add_co_ci_u32_e32 v7, vcc_lo, v1, v7, vcc_lo
	v_pack_b32_f16 v12, v23, v21
	v_add_co_u32 v0, vcc_lo, v0, v10
	v_pack_b32_f16 v13, v91, v84
	s_wait_alu 0xfffd
	v_add_co_ci_u32_e32 v1, vcc_lo, v1, v11, vcc_lo
	v_pack_b32_f16 v10, v44, v42
	s_clause 0x4
	global_store_b32 v[2:3], v16, off
	global_store_b32 v[4:5], v15, off
	;; [unrolled: 1-line block ×5, first 2 shown]
.LBB0_22:
	s_nop 0
	s_sendmsg sendmsg(MSG_DEALLOC_VGPRS)
	s_endpgm
	.section	.rodata,"a",@progbits
	.p2align	6, 0x0
	.amdhsa_kernel fft_rtc_back_len1188_factors_6_11_2_3_3_wgs_198_tpt_66_halfLds_half_ip_CI_sbrr_dirReg
		.amdhsa_group_segment_fixed_size 0
		.amdhsa_private_segment_fixed_size 0
		.amdhsa_kernarg_size 88
		.amdhsa_user_sgpr_count 2
		.amdhsa_user_sgpr_dispatch_ptr 0
		.amdhsa_user_sgpr_queue_ptr 0
		.amdhsa_user_sgpr_kernarg_segment_ptr 1
		.amdhsa_user_sgpr_dispatch_id 0
		.amdhsa_user_sgpr_private_segment_size 0
		.amdhsa_wavefront_size32 1
		.amdhsa_uses_dynamic_stack 0
		.amdhsa_enable_private_segment 0
		.amdhsa_system_sgpr_workgroup_id_x 1
		.amdhsa_system_sgpr_workgroup_id_y 0
		.amdhsa_system_sgpr_workgroup_id_z 0
		.amdhsa_system_sgpr_workgroup_info 0
		.amdhsa_system_vgpr_workitem_id 0
		.amdhsa_next_free_vgpr 126
		.amdhsa_next_free_sgpr 35
		.amdhsa_reserve_vcc 1
		.amdhsa_float_round_mode_32 0
		.amdhsa_float_round_mode_16_64 0
		.amdhsa_float_denorm_mode_32 3
		.amdhsa_float_denorm_mode_16_64 3
		.amdhsa_fp16_overflow 0
		.amdhsa_workgroup_processor_mode 1
		.amdhsa_memory_ordered 1
		.amdhsa_forward_progress 0
		.amdhsa_round_robin_scheduling 0
		.amdhsa_exception_fp_ieee_invalid_op 0
		.amdhsa_exception_fp_denorm_src 0
		.amdhsa_exception_fp_ieee_div_zero 0
		.amdhsa_exception_fp_ieee_overflow 0
		.amdhsa_exception_fp_ieee_underflow 0
		.amdhsa_exception_fp_ieee_inexact 0
		.amdhsa_exception_int_div_zero 0
	.end_amdhsa_kernel
	.text
.Lfunc_end0:
	.size	fft_rtc_back_len1188_factors_6_11_2_3_3_wgs_198_tpt_66_halfLds_half_ip_CI_sbrr_dirReg, .Lfunc_end0-fft_rtc_back_len1188_factors_6_11_2_3_3_wgs_198_tpt_66_halfLds_half_ip_CI_sbrr_dirReg
                                        ; -- End function
	.section	.AMDGPU.csdata,"",@progbits
; Kernel info:
; codeLenInByte = 15484
; NumSgprs: 37
; NumVgprs: 126
; ScratchSize: 0
; MemoryBound: 0
; FloatMode: 240
; IeeeMode: 1
; LDSByteSize: 0 bytes/workgroup (compile time only)
; SGPRBlocks: 4
; VGPRBlocks: 15
; NumSGPRsForWavesPerEU: 37
; NumVGPRsForWavesPerEU: 126
; Occupancy: 10
; WaveLimiterHint : 1
; COMPUTE_PGM_RSRC2:SCRATCH_EN: 0
; COMPUTE_PGM_RSRC2:USER_SGPR: 2
; COMPUTE_PGM_RSRC2:TRAP_HANDLER: 0
; COMPUTE_PGM_RSRC2:TGID_X_EN: 1
; COMPUTE_PGM_RSRC2:TGID_Y_EN: 0
; COMPUTE_PGM_RSRC2:TGID_Z_EN: 0
; COMPUTE_PGM_RSRC2:TIDIG_COMP_CNT: 0
	.text
	.p2alignl 7, 3214868480
	.fill 96, 4, 3214868480
	.type	__hip_cuid_c96677ed505b16a0,@object ; @__hip_cuid_c96677ed505b16a0
	.section	.bss,"aw",@nobits
	.globl	__hip_cuid_c96677ed505b16a0
__hip_cuid_c96677ed505b16a0:
	.byte	0                               ; 0x0
	.size	__hip_cuid_c96677ed505b16a0, 1

	.ident	"AMD clang version 19.0.0git (https://github.com/RadeonOpenCompute/llvm-project roc-6.4.0 25133 c7fe45cf4b819c5991fe208aaa96edf142730f1d)"
	.section	".note.GNU-stack","",@progbits
	.addrsig
	.addrsig_sym __hip_cuid_c96677ed505b16a0
	.amdgpu_metadata
---
amdhsa.kernels:
  - .args:
      - .actual_access:  read_only
        .address_space:  global
        .offset:         0
        .size:           8
        .value_kind:     global_buffer
      - .offset:         8
        .size:           8
        .value_kind:     by_value
      - .actual_access:  read_only
        .address_space:  global
        .offset:         16
        .size:           8
        .value_kind:     global_buffer
      - .actual_access:  read_only
        .address_space:  global
        .offset:         24
        .size:           8
        .value_kind:     global_buffer
      - .offset:         32
        .size:           8
        .value_kind:     by_value
      - .actual_access:  read_only
        .address_space:  global
        .offset:         40
        .size:           8
        .value_kind:     global_buffer
      - .actual_access:  read_only
        .address_space:  global
        .offset:         48
        .size:           8
        .value_kind:     global_buffer
      - .offset:         56
        .size:           4
        .value_kind:     by_value
      - .actual_access:  read_only
        .address_space:  global
        .offset:         64
        .size:           8
        .value_kind:     global_buffer
      - .actual_access:  read_only
        .address_space:  global
        .offset:         72
        .size:           8
        .value_kind:     global_buffer
      - .address_space:  global
        .offset:         80
        .size:           8
        .value_kind:     global_buffer
    .group_segment_fixed_size: 0
    .kernarg_segment_align: 8
    .kernarg_segment_size: 88
    .language:       OpenCL C
    .language_version:
      - 2
      - 0
    .max_flat_workgroup_size: 198
    .name:           fft_rtc_back_len1188_factors_6_11_2_3_3_wgs_198_tpt_66_halfLds_half_ip_CI_sbrr_dirReg
    .private_segment_fixed_size: 0
    .sgpr_count:     37
    .sgpr_spill_count: 0
    .symbol:         fft_rtc_back_len1188_factors_6_11_2_3_3_wgs_198_tpt_66_halfLds_half_ip_CI_sbrr_dirReg.kd
    .uniform_work_group_size: 1
    .uses_dynamic_stack: false
    .vgpr_count:     126
    .vgpr_spill_count: 0
    .wavefront_size: 32
    .workgroup_processor_mode: 1
amdhsa.target:   amdgcn-amd-amdhsa--gfx1201
amdhsa.version:
  - 1
  - 2
...

	.end_amdgpu_metadata
